;; amdgpu-corpus repo=ROCm/rocFFT kind=compiled arch=gfx906 opt=O3
	.text
	.amdgcn_target "amdgcn-amd-amdhsa--gfx906"
	.amdhsa_code_object_version 6
	.protected	fft_rtc_back_len825_factors_11_5_5_3_wgs_55_tpt_55_half_op_CI_CI_sbrr_dirReg ; -- Begin function fft_rtc_back_len825_factors_11_5_5_3_wgs_55_tpt_55_half_op_CI_CI_sbrr_dirReg
	.globl	fft_rtc_back_len825_factors_11_5_5_3_wgs_55_tpt_55_half_op_CI_CI_sbrr_dirReg
	.p2align	8
	.type	fft_rtc_back_len825_factors_11_5_5_3_wgs_55_tpt_55_half_op_CI_CI_sbrr_dirReg,@function
fft_rtc_back_len825_factors_11_5_5_3_wgs_55_tpt_55_half_op_CI_CI_sbrr_dirReg: ; @fft_rtc_back_len825_factors_11_5_5_3_wgs_55_tpt_55_half_op_CI_CI_sbrr_dirReg
; %bb.0:
	s_load_dwordx4 s[16:19], s[4:5], 0x18
	s_load_dwordx4 s[12:15], s[4:5], 0x0
	;; [unrolled: 1-line block ×3, first 2 shown]
	v_mul_u32_u24_e32 v1, 0x4a8, v0
	v_mov_b32_e32 v7, 0
	s_waitcnt lgkmcnt(0)
	s_load_dwordx2 s[20:21], s[16:17], 0x0
	s_load_dwordx2 s[2:3], s[18:19], 0x0
	v_cmp_lt_u64_e64 s[0:1], s[14:15], 2
	v_mov_b32_e32 v5, 0
	v_add_u32_sdwa v9, s6, v1 dst_sel:DWORD dst_unused:UNUSED_PAD src0_sel:DWORD src1_sel:WORD_1
	v_mov_b32_e32 v10, v7
	s_and_b64 vcc, exec, s[0:1]
	v_mov_b32_e32 v6, 0
	s_cbranch_vccnz .LBB0_8
; %bb.1:
	s_load_dwordx2 s[0:1], s[4:5], 0x10
	s_add_u32 s6, s18, 8
	s_addc_u32 s7, s19, 0
	s_add_u32 s22, s16, 8
	s_addc_u32 s23, s17, 0
	v_mov_b32_e32 v5, 0
	s_waitcnt lgkmcnt(0)
	s_add_u32 s24, s0, 8
	v_mov_b32_e32 v6, 0
	v_mov_b32_e32 v1, v5
	s_addc_u32 s25, s1, 0
	s_mov_b64 s[26:27], 1
	v_mov_b32_e32 v2, v6
.LBB0_2:                                ; =>This Inner Loop Header: Depth=1
	s_load_dwordx2 s[28:29], s[24:25], 0x0
                                        ; implicit-def: $vgpr3_vgpr4
	s_waitcnt lgkmcnt(0)
	v_or_b32_e32 v8, s29, v10
	v_cmp_ne_u64_e32 vcc, 0, v[7:8]
	s_and_saveexec_b64 s[0:1], vcc
	s_xor_b64 s[30:31], exec, s[0:1]
	s_cbranch_execz .LBB0_4
; %bb.3:                                ;   in Loop: Header=BB0_2 Depth=1
	v_cvt_f32_u32_e32 v3, s28
	v_cvt_f32_u32_e32 v4, s29
	s_sub_u32 s0, 0, s28
	s_subb_u32 s1, 0, s29
	v_mac_f32_e32 v3, 0x4f800000, v4
	v_rcp_f32_e32 v3, v3
	v_mul_f32_e32 v3, 0x5f7ffffc, v3
	v_mul_f32_e32 v4, 0x2f800000, v3
	v_trunc_f32_e32 v4, v4
	v_mac_f32_e32 v3, 0xcf800000, v4
	v_cvt_u32_f32_e32 v4, v4
	v_cvt_u32_f32_e32 v3, v3
	v_mul_lo_u32 v8, s0, v4
	v_mul_hi_u32 v11, s0, v3
	v_mul_lo_u32 v13, s1, v3
	v_mul_lo_u32 v12, s0, v3
	v_add_u32_e32 v8, v11, v8
	v_add_u32_e32 v8, v8, v13
	v_mul_hi_u32 v11, v3, v12
	v_mul_lo_u32 v13, v3, v8
	v_mul_hi_u32 v15, v3, v8
	v_mul_hi_u32 v14, v4, v12
	v_mul_lo_u32 v12, v4, v12
	v_mul_hi_u32 v16, v4, v8
	v_add_co_u32_e32 v11, vcc, v11, v13
	v_addc_co_u32_e32 v13, vcc, 0, v15, vcc
	v_mul_lo_u32 v8, v4, v8
	v_add_co_u32_e32 v11, vcc, v11, v12
	v_addc_co_u32_e32 v11, vcc, v13, v14, vcc
	v_addc_co_u32_e32 v12, vcc, 0, v16, vcc
	v_add_co_u32_e32 v8, vcc, v11, v8
	v_addc_co_u32_e32 v11, vcc, 0, v12, vcc
	v_add_co_u32_e32 v3, vcc, v3, v8
	v_addc_co_u32_e32 v4, vcc, v4, v11, vcc
	v_mul_lo_u32 v8, s0, v4
	v_mul_hi_u32 v11, s0, v3
	v_mul_lo_u32 v12, s1, v3
	v_mul_lo_u32 v13, s0, v3
	v_add_u32_e32 v8, v11, v8
	v_add_u32_e32 v8, v8, v12
	v_mul_lo_u32 v14, v3, v8
	v_mul_hi_u32 v15, v3, v13
	v_mul_hi_u32 v16, v3, v8
	;; [unrolled: 1-line block ×3, first 2 shown]
	v_mul_lo_u32 v13, v4, v13
	v_mul_hi_u32 v11, v4, v8
	v_add_co_u32_e32 v14, vcc, v15, v14
	v_addc_co_u32_e32 v15, vcc, 0, v16, vcc
	v_mul_lo_u32 v8, v4, v8
	v_add_co_u32_e32 v13, vcc, v14, v13
	v_addc_co_u32_e32 v12, vcc, v15, v12, vcc
	v_addc_co_u32_e32 v11, vcc, 0, v11, vcc
	v_add_co_u32_e32 v8, vcc, v12, v8
	v_addc_co_u32_e32 v11, vcc, 0, v11, vcc
	v_add_co_u32_e32 v8, vcc, v3, v8
	v_addc_co_u32_e32 v11, vcc, v4, v11, vcc
	v_mad_u64_u32 v[3:4], s[0:1], v9, v11, 0
	v_mul_hi_u32 v12, v9, v8
	v_add_co_u32_e32 v13, vcc, v12, v3
	v_addc_co_u32_e32 v14, vcc, 0, v4, vcc
	v_mad_u64_u32 v[3:4], s[0:1], v10, v8, 0
	v_mad_u64_u32 v[11:12], s[0:1], v10, v11, 0
	v_add_co_u32_e32 v3, vcc, v13, v3
	v_addc_co_u32_e32 v3, vcc, v14, v4, vcc
	v_addc_co_u32_e32 v4, vcc, 0, v12, vcc
	v_add_co_u32_e32 v8, vcc, v3, v11
	v_addc_co_u32_e32 v11, vcc, 0, v4, vcc
	v_mul_lo_u32 v12, s29, v8
	v_mul_lo_u32 v13, s28, v11
	v_mad_u64_u32 v[3:4], s[0:1], s28, v8, 0
	v_add3_u32 v4, v4, v13, v12
	v_sub_u32_e32 v12, v10, v4
	v_mov_b32_e32 v13, s29
	v_sub_co_u32_e32 v3, vcc, v9, v3
	v_subb_co_u32_e64 v12, s[0:1], v12, v13, vcc
	v_subrev_co_u32_e64 v13, s[0:1], s28, v3
	v_subbrev_co_u32_e64 v12, s[0:1], 0, v12, s[0:1]
	v_cmp_le_u32_e64 s[0:1], s29, v12
	v_cndmask_b32_e64 v14, 0, -1, s[0:1]
	v_cmp_le_u32_e64 s[0:1], s28, v13
	v_cndmask_b32_e64 v13, 0, -1, s[0:1]
	v_cmp_eq_u32_e64 s[0:1], s29, v12
	v_cndmask_b32_e64 v12, v14, v13, s[0:1]
	v_add_co_u32_e64 v13, s[0:1], 2, v8
	v_addc_co_u32_e64 v14, s[0:1], 0, v11, s[0:1]
	v_add_co_u32_e64 v15, s[0:1], 1, v8
	v_addc_co_u32_e64 v16, s[0:1], 0, v11, s[0:1]
	v_subb_co_u32_e32 v4, vcc, v10, v4, vcc
	v_cmp_ne_u32_e64 s[0:1], 0, v12
	v_cmp_le_u32_e32 vcc, s29, v4
	v_cndmask_b32_e64 v12, v16, v14, s[0:1]
	v_cndmask_b32_e64 v14, 0, -1, vcc
	v_cmp_le_u32_e32 vcc, s28, v3
	v_cndmask_b32_e64 v3, 0, -1, vcc
	v_cmp_eq_u32_e32 vcc, s29, v4
	v_cndmask_b32_e32 v3, v14, v3, vcc
	v_cmp_ne_u32_e32 vcc, 0, v3
	v_cndmask_b32_e64 v3, v15, v13, s[0:1]
	v_cndmask_b32_e32 v4, v11, v12, vcc
	v_cndmask_b32_e32 v3, v8, v3, vcc
.LBB0_4:                                ;   in Loop: Header=BB0_2 Depth=1
	s_andn2_saveexec_b64 s[0:1], s[30:31]
	s_cbranch_execz .LBB0_6
; %bb.5:                                ;   in Loop: Header=BB0_2 Depth=1
	v_cvt_f32_u32_e32 v3, s28
	s_sub_i32 s30, 0, s28
	v_rcp_iflag_f32_e32 v3, v3
	v_mul_f32_e32 v3, 0x4f7ffffe, v3
	v_cvt_u32_f32_e32 v3, v3
	v_mul_lo_u32 v4, s30, v3
	v_mul_hi_u32 v4, v3, v4
	v_add_u32_e32 v3, v3, v4
	v_mul_hi_u32 v3, v9, v3
	v_mul_lo_u32 v4, v3, s28
	v_add_u32_e32 v8, 1, v3
	v_sub_u32_e32 v4, v9, v4
	v_subrev_u32_e32 v11, s28, v4
	v_cmp_le_u32_e32 vcc, s28, v4
	v_cndmask_b32_e32 v4, v4, v11, vcc
	v_cndmask_b32_e32 v3, v3, v8, vcc
	v_add_u32_e32 v8, 1, v3
	v_cmp_le_u32_e32 vcc, s28, v4
	v_cndmask_b32_e32 v3, v3, v8, vcc
	v_mov_b32_e32 v4, v7
.LBB0_6:                                ;   in Loop: Header=BB0_2 Depth=1
	s_or_b64 exec, exec, s[0:1]
	v_mul_lo_u32 v8, v4, s28
	v_mul_lo_u32 v13, v3, s29
	v_mad_u64_u32 v[11:12], s[0:1], v3, s28, 0
	s_load_dwordx2 s[0:1], s[22:23], 0x0
	s_load_dwordx2 s[28:29], s[6:7], 0x0
	v_add3_u32 v8, v12, v13, v8
	v_sub_co_u32_e32 v9, vcc, v9, v11
	v_subb_co_u32_e32 v8, vcc, v10, v8, vcc
	s_waitcnt lgkmcnt(0)
	v_mul_lo_u32 v10, s0, v8
	v_mul_lo_u32 v11, s1, v9
	v_mad_u64_u32 v[5:6], s[0:1], s0, v9, v[5:6]
	v_mul_lo_u32 v8, s28, v8
	v_mul_lo_u32 v12, s29, v9
	v_mad_u64_u32 v[1:2], s[0:1], s28, v9, v[1:2]
	s_add_u32 s26, s26, 1
	s_addc_u32 s27, s27, 0
	s_add_u32 s6, s6, 8
	v_add3_u32 v2, v12, v2, v8
	s_addc_u32 s7, s7, 0
	v_mov_b32_e32 v8, s14
	s_add_u32 s22, s22, 8
	v_mov_b32_e32 v9, s15
	s_addc_u32 s23, s23, 0
	v_cmp_ge_u64_e32 vcc, s[26:27], v[8:9]
	s_add_u32 s24, s24, 8
	v_add3_u32 v6, v11, v6, v10
	s_addc_u32 s25, s25, 0
	s_cbranch_vccnz .LBB0_9
; %bb.7:                                ;   in Loop: Header=BB0_2 Depth=1
	v_mov_b32_e32 v10, v4
	v_mov_b32_e32 v9, v3
	s_branch .LBB0_2
.LBB0_8:
	v_mov_b32_e32 v1, v5
	v_mov_b32_e32 v3, v9
	;; [unrolled: 1-line block ×4, first 2 shown]
.LBB0_9:
	s_load_dwordx2 s[0:1], s[4:5], 0x28
	s_lshl_b64 s[14:15], s[14:15], 3
	s_add_u32 s4, s18, s14
	s_addc_u32 s5, s19, s15
                                        ; implicit-def: $vgpr27
                                        ; implicit-def: $vgpr28
	s_waitcnt lgkmcnt(0)
	v_cmp_gt_u64_e32 vcc, s[0:1], v[3:4]
	v_cmp_le_u64_e64 s[0:1], s[0:1], v[3:4]
	s_and_saveexec_b64 s[6:7], s[0:1]
	s_xor_b64 s[0:1], exec, s[6:7]
; %bb.10:
	s_mov_b32 s6, 0x4a7904b
	v_mul_hi_u32 v5, v0, s6
	v_mul_u32_u24_e32 v5, 55, v5
	v_sub_u32_e32 v27, v0, v5
	v_add_u32_e32 v28, 55, v27
                                        ; implicit-def: $vgpr0
                                        ; implicit-def: $vgpr5_vgpr6
; %bb.11:
	s_andn2_saveexec_b64 s[6:7], s[0:1]
	s_cbranch_execz .LBB0_13
; %bb.12:
	s_add_u32 s0, s16, s14
	s_mov_b32 s14, 0x4a7904b
	v_mul_hi_u32 v7, v0, s14
	s_addc_u32 s1, s17, s15
	s_load_dwordx2 s[0:1], s[0:1], 0x0
	v_lshlrev_b64 v[5:6], 2, v[5:6]
	v_mul_u32_u24_e32 v7, 55, v7
	v_sub_u32_e32 v27, v0, v7
	v_mad_u64_u32 v[7:8], s[14:15], s20, v27, 0
	s_waitcnt lgkmcnt(0)
	v_mul_lo_u32 v13, s1, v3
	v_mul_lo_u32 v14, s0, v4
	v_mad_u64_u32 v[9:10], s[0:1], s0, v3, 0
	v_mov_b32_e32 v0, v8
	v_mad_u64_u32 v[11:12], s[0:1], s21, v27, v[0:1]
	v_add3_u32 v10, v10, v14, v13
	v_lshlrev_b64 v[9:10], 2, v[9:10]
	v_mov_b32_e32 v8, v11
	v_mov_b32_e32 v0, s9
	v_add_co_u32_e64 v11, s[0:1], s8, v9
	v_add_u32_e32 v28, 55, v27
	v_addc_co_u32_e64 v0, s[0:1], v0, v10, s[0:1]
	v_mad_u64_u32 v[9:10], s[0:1], s20, v28, 0
	v_add_co_u32_e64 v39, s[0:1], v11, v5
	v_addc_co_u32_e64 v40, s[0:1], v0, v6, s[0:1]
	v_mov_b32_e32 v0, v10
	v_add_u32_e32 v13, 0x6e, v27
	v_lshlrev_b64 v[5:6], 2, v[7:8]
	v_mad_u64_u32 v[7:8], s[0:1], s21, v28, v[0:1]
	v_mad_u64_u32 v[11:12], s[0:1], s20, v13, 0
	v_add_co_u32_e64 v5, s[0:1], v39, v5
	v_mov_b32_e32 v10, v7
	v_mov_b32_e32 v0, v12
	v_add_u32_e32 v15, 0xa5, v27
	v_addc_co_u32_e64 v6, s[0:1], v40, v6, s[0:1]
	v_lshlrev_b64 v[7:8], 2, v[9:10]
	v_mad_u64_u32 v[9:10], s[0:1], s21, v13, v[0:1]
	v_mad_u64_u32 v[13:14], s[0:1], s20, v15, 0
	v_add_co_u32_e64 v7, s[0:1], v39, v7
	v_mov_b32_e32 v12, v9
	v_mov_b32_e32 v0, v14
	v_add_u32_e32 v17, 0xdc, v27
	v_addc_co_u32_e64 v8, s[0:1], v40, v8, s[0:1]
	;; [unrolled: 8-line block ×12, first 2 shown]
	v_lshlrev_b64 v[31:32], 2, v[33:34]
	v_mad_u64_u32 v[33:34], s[0:1], s21, v37, v[0:1]
	v_mad_u64_u32 v[37:38], s[0:1], s20, v41, 0
	v_add_co_u32_e64 v31, s[0:1], v39, v31
	v_mov_b32_e32 v36, v33
	v_mov_b32_e32 v0, v38
	v_addc_co_u32_e64 v32, s[0:1], v40, v32, s[0:1]
	v_lshlrev_b64 v[33:34], 2, v[35:36]
	v_mad_u64_u32 v[35:36], s[0:1], s21, v41, v[0:1]
	v_add_co_u32_e64 v33, s[0:1], v39, v33
	v_mov_b32_e32 v38, v35
	v_lshlrev_b64 v[35:36], 2, v[37:38]
	v_addc_co_u32_e64 v34, s[0:1], v40, v34, s[0:1]
	v_add_co_u32_e64 v35, s[0:1], v39, v35
	v_addc_co_u32_e64 v36, s[0:1], v40, v36, s[0:1]
	global_load_dword v0, v[5:6], off
	global_load_dword v37, v[7:8], off
	;; [unrolled: 1-line block ×15, first 2 shown]
	v_lshl_add_u32 v5, v27, 2, 0
	s_waitcnt vmcnt(13)
	ds_write2_b32 v5, v0, v37 offset1:55
	s_waitcnt vmcnt(11)
	ds_write2_b32 v5, v38, v39 offset0:110 offset1:165
	v_add_u32_e32 v0, 0x200, v5
	s_waitcnt vmcnt(9)
	ds_write2_b32 v0, v40, v41 offset0:92 offset1:147
	v_add_u32_e32 v0, 0x400, v5
	s_waitcnt vmcnt(7)
	ds_write2_b32 v0, v42, v43 offset0:74 offset1:129
	s_waitcnt vmcnt(5)
	ds_write2_b32 v0, v44, v45 offset0:184 offset1:239
	v_add_u32_e32 v0, 0x800, v5
	s_waitcnt vmcnt(3)
	ds_write2_b32 v0, v46, v47 offset0:38 offset1:93
	s_waitcnt vmcnt(1)
	ds_write2_b32 v0, v48, v49 offset0:148 offset1:203
	s_waitcnt vmcnt(0)
	ds_write_b32 v5, v50 offset:3080
.LBB0_13:
	s_or_b64 exec, exec, s[6:7]
	v_lshl_add_u32 v0, v27, 2, 0
	s_load_dwordx2 s[4:5], s[4:5], 0x0
	s_waitcnt lgkmcnt(0)
	; wave barrier
	s_waitcnt lgkmcnt(0)
	ds_read2_b32 v[5:6], v0 offset1:55
	ds_read2_b32 v[17:18], v0 offset0:75 offset1:130
	ds_read2_b32 v[9:10], v0 offset0:150 offset1:205
	v_add_u32_e32 v32, 0x200, v0
	ds_read2_b32 v[11:12], v32 offset0:97 offset1:152
	v_add_u32_e32 v29, 0x400, v0
	ds_read2_b32 v[13:14], v29 offset0:44 offset1:99
	ds_read2_b32 v[7:8], v29 offset0:119 offset1:174
	;; [unrolled: 1-line block ×3, first 2 shown]
	s_waitcnt lgkmcnt(5)
	v_pk_add_f16 v34, v5, v17
	s_waitcnt lgkmcnt(4)
	v_pk_add_f16 v34, v34, v9
	v_add_u32_e32 v30, 0x800, v0
	v_add_u32_e32 v31, 0xa00, v0
	s_waitcnt lgkmcnt(3)
	v_pk_add_f16 v34, v34, v11
	ds_read2_b32 v[19:20], v30 offset0:13 offset1:68
	ds_read2_b32 v[21:22], v30 offset0:88 offset1:143
	;; [unrolled: 1-line block ×4, first 2 shown]
	s_waitcnt lgkmcnt(6)
	v_pk_add_f16 v34, v34, v13
	s_waitcnt lgkmcnt(5)
	v_pk_add_f16 v34, v34, v7
	;; [unrolled: 2-line block ×6, first 2 shown]
	s_waitcnt lgkmcnt(0)
	v_pk_add_f16 v36, v17, v25 neg_lo:[0,1] neg_hi:[0,1]
	s_mov_b32 s20, 0xb853
	v_pk_add_f16 v34, v34, v25
	v_pk_add_f16 v35, v25, v17
	v_pk_mul_f16 v25, v36, s20 op_sel_hi:[1,0]
	s_movk_i32 s14, 0x3abb
	s_mov_b32 s19, 0xbb47
	v_pk_add_f16 v50, v23, v9
	v_pk_add_f16 v9, v9, v23 neg_lo:[0,1] neg_hi:[0,1]
	v_pk_fma_f16 v17, v35, s14, v25 op_sel:[0,0,1] op_sel_hi:[1,0,0]
	v_pk_fma_f16 v25, v35, s14, v25 op_sel:[0,0,1] op_sel_hi:[1,0,0] neg_lo:[0,0,1] neg_hi:[0,0,1]
	s_mov_b32 s8, 0xffff
	s_movk_i32 s16, 0x36a6
	v_pk_mul_f16 v23, v9, s19 op_sel_hi:[1,0]
	v_bfi_b32 v37, s8, v17, v25
	v_pk_fma_f16 v51, v50, s16, v23 op_sel:[0,0,1] op_sel_hi:[1,0,0]
	v_pk_fma_f16 v23, v50, s16, v23 op_sel:[0,0,1] op_sel_hi:[1,0,0] neg_lo:[0,0,1] neg_hi:[0,0,1]
	v_pk_add_f16 v37, v5, v37
	v_mul_f16_sdwa v38, v36, s19 dst_sel:DWORD dst_unused:UNUSED_PAD src0_sel:WORD_1 src1_sel:DWORD
	s_mov_b32 s18, 0xba0c
	v_bfi_b32 v52, s8, v51, v23
	v_fma_f16 v39, v35, s16, v38
	s_mov_b32 s21, 0xb93d
	v_pk_add_f16 v37, v52, v37
	v_mul_f16_sdwa v52, v9, s18 dst_sel:DWORD dst_unused:UNUSED_PAD src0_sel:WORD_1 src1_sel:DWORD
	v_add_f16_e32 v39, v5, v39
	v_mul_f16_sdwa v40, v35, s16 dst_sel:DWORD dst_unused:UNUSED_PAD src0_sel:WORD_1 src1_sel:DWORD
	s_movk_i32 s9, 0x3b47
	v_fma_f16 v38, v35, s16, -v38
	v_fma_f16 v53, v50, s21, v52
	v_fma_f16 v41, v36, s9, v40
	v_add_f16_e32 v38, v5, v38
	v_fma_f16 v40, v36, s19, v40
	s_mov_b32 s15, 0xbbeb
	v_add_f16_e32 v39, v53, v39
	v_mul_f16_sdwa v53, v50, s21 dst_sel:DWORD dst_unused:UNUSED_PAD src0_sel:WORD_1 src1_sel:DWORD
	v_fma_f16 v52, v50, s21, -v52
	v_add_f16_sdwa v40, v5, v40 dst_sel:DWORD dst_unused:UNUSED_PAD src0_sel:WORD_1 src1_sel:DWORD
	v_mul_f16_sdwa v42, v36, s15 dst_sel:DWORD dst_unused:UNUSED_PAD src0_sel:WORD_1 src1_sel:DWORD
	s_mov_b32 s17, 0xb08e
	v_add_f16_e32 v38, v52, v38
	v_fma_f16 v52, v9, s18, v53
	s_movk_i32 s25, 0x3482
	v_fma_f16 v43, v35, s17, v42
	s_movk_i32 s27, 0x3a0c
	v_add_f16_e32 v40, v52, v40
	v_mul_f16_sdwa v52, v9, s25 dst_sel:DWORD dst_unused:UNUSED_PAD src0_sel:WORD_1 src1_sel:DWORD
	s_mov_b32 s24, 0xbbad
	v_add_f16_e32 v43, v5, v43
	v_mul_f16_sdwa v44, v35, s17 dst_sel:DWORD dst_unused:UNUSED_PAD src0_sel:WORD_1 src1_sel:DWORD
	s_movk_i32 s22, 0x3beb
	v_fma_f16 v42, v35, s17, -v42
	v_fma_f16 v54, v9, s27, v53
	v_fma_f16 v53, v50, s24, v52
	;; [unrolled: 1-line block ×3, first 2 shown]
	v_add_f16_e32 v42, v5, v42
	v_fma_f16 v44, v36, s15, v44
	v_add_f16_e32 v43, v53, v43
	v_mul_f16_sdwa v53, v50, s24 dst_sel:DWORD dst_unused:UNUSED_PAD src0_sel:WORD_1 src1_sel:DWORD
	v_fma_f16 v52, v50, s24, -v52
	v_add_f16_sdwa v44, v5, v44 dst_sel:DWORD dst_unused:UNUSED_PAD src0_sel:WORD_1 src1_sel:DWORD
	v_mul_f16_sdwa v46, v36, s18 dst_sel:DWORD dst_unused:UNUSED_PAD src0_sel:WORD_1 src1_sel:DWORD
	v_add_f16_e32 v42, v52, v42
	v_fma_f16 v52, v9, s25, v53
	v_add_f16_sdwa v41, v5, v41 dst_sel:DWORD dst_unused:UNUSED_PAD src0_sel:WORD_1 src1_sel:DWORD
	v_fma_f16 v47, v35, s21, v46
	s_mov_b32 s23, 0xb482
	v_add_f16_e32 v44, v52, v44
	v_mul_f16_sdwa v52, v9, s22 dst_sel:DWORD dst_unused:UNUSED_PAD src0_sel:WORD_1 src1_sel:DWORD
	v_add_f16_e32 v47, v5, v47
	v_mul_f16_sdwa v48, v35, s21 dst_sel:DWORD dst_unused:UNUSED_PAD src0_sel:WORD_1 src1_sel:DWORD
	v_fma_f16 v46, v35, s21, -v46
	v_add_f16_e32 v41, v54, v41
	v_fma_f16 v54, v9, s23, v53
	v_fma_f16 v53, v50, s17, v52
	;; [unrolled: 1-line block ×3, first 2 shown]
	v_add_f16_e32 v46, v5, v46
	v_fma_f16 v48, v36, s18, v48
	v_add_f16_e32 v47, v53, v47
	v_mul_f16_sdwa v53, v50, s17 dst_sel:DWORD dst_unused:UNUSED_PAD src0_sel:WORD_1 src1_sel:DWORD
	v_fma_f16 v52, v50, s17, -v52
	v_add_f16_sdwa v48, v5, v48 dst_sel:DWORD dst_unused:UNUSED_PAD src0_sel:WORD_1 src1_sel:DWORD
	v_add_f16_e32 v46, v52, v46
	v_fma_f16 v52, v9, s22, v53
	v_add_f16_e32 v48, v52, v48
	v_pk_add_f16 v52, v21, v11
	v_pk_add_f16 v11, v11, v21 neg_lo:[0,1] neg_hi:[0,1]
	v_add_f16_sdwa v45, v5, v45 dst_sel:DWORD dst_unused:UNUSED_PAD src0_sel:WORD_1 src1_sel:DWORD
	v_pk_mul_f16 v21, v11, s15 op_sel_hi:[1,0]
	v_add_f16_sdwa v49, v5, v49 dst_sel:DWORD dst_unused:UNUSED_PAD src0_sel:WORD_1 src1_sel:DWORD
	v_add_f16_e32 v45, v54, v45
	v_fma_f16 v54, v9, s15, v53
	v_pk_fma_f16 v53, v52, s17, v21 op_sel:[0,0,1] op_sel_hi:[1,0,0]
	v_pk_fma_f16 v21, v52, s17, v21 op_sel:[0,0,1] op_sel_hi:[1,0,0] neg_lo:[0,0,1] neg_hi:[0,0,1]
	v_add_f16_e32 v49, v54, v49
	v_bfi_b32 v54, s8, v53, v21
	v_pk_add_f16 v37, v54, v37
	v_mul_f16_sdwa v54, v11, s25 dst_sel:DWORD dst_unused:UNUSED_PAD src0_sel:WORD_1 src1_sel:DWORD
	v_fma_f16 v55, v52, s24, v54
	v_add_f16_e32 v39, v55, v39
	v_mul_f16_sdwa v55, v52, s24 dst_sel:DWORD dst_unused:UNUSED_PAD src0_sel:WORD_1 src1_sel:DWORD
	v_fma_f16 v54, v52, s24, -v54
	v_add_f16_e32 v38, v54, v38
	v_fma_f16 v54, v11, s25, v55
	v_add_f16_e32 v40, v54, v40
	v_mul_f16_sdwa v54, v11, s9 dst_sel:DWORD dst_unused:UNUSED_PAD src0_sel:WORD_1 src1_sel:DWORD
	v_fma_f16 v56, v11, s23, v55
	v_fma_f16 v55, v52, s16, v54
	v_add_f16_e32 v43, v55, v43
	v_mul_f16_sdwa v55, v52, s16 dst_sel:DWORD dst_unused:UNUSED_PAD src0_sel:WORD_1 src1_sel:DWORD
	v_fma_f16 v54, v52, s16, -v54
	v_add_f16_e32 v42, v54, v42
	v_fma_f16 v54, v11, s9, v55
	v_add_f16_e32 v44, v54, v44
	v_mul_f16_sdwa v54, v11, s20 dst_sel:DWORD dst_unused:UNUSED_PAD src0_sel:WORD_1 src1_sel:DWORD
	v_add_f16_e32 v41, v56, v41
	v_fma_f16 v56, v11, s19, v55
	v_fma_f16 v55, v52, s14, v54
	v_add_f16_e32 v47, v55, v47
	v_mul_f16_sdwa v55, v52, s14 dst_sel:DWORD dst_unused:UNUSED_PAD src0_sel:WORD_1 src1_sel:DWORD
	v_fma_f16 v54, v52, s14, -v54
	v_add_f16_e32 v46, v54, v46
	v_fma_f16 v54, v11, s20, v55
	v_add_f16_e32 v48, v54, v48
	v_pk_add_f16 v54, v19, v13
	v_pk_add_f16 v13, v13, v19 neg_lo:[0,1] neg_hi:[0,1]
	s_movk_i32 s26, 0x3853
	v_pk_mul_f16 v19, v13, s18 op_sel_hi:[1,0]
	v_add_f16_e32 v45, v56, v45
	v_fma_f16 v56, v11, s26, v55
	v_pk_fma_f16 v55, v54, s21, v19 op_sel:[0,0,1] op_sel_hi:[1,0,0]
	v_pk_fma_f16 v19, v54, s21, v19 op_sel:[0,0,1] op_sel_hi:[1,0,0] neg_lo:[0,0,1] neg_hi:[0,0,1]
	v_add_f16_e32 v49, v56, v49
	v_bfi_b32 v56, s8, v55, v19
	v_pk_add_f16 v37, v56, v37
	v_mul_f16_sdwa v56, v13, s22 dst_sel:DWORD dst_unused:UNUSED_PAD src0_sel:WORD_1 src1_sel:DWORD
	v_fma_f16 v57, v54, s17, v56
	v_add_f16_e32 v39, v57, v39
	v_mul_f16_sdwa v57, v54, s17 dst_sel:DWORD dst_unused:UNUSED_PAD src0_sel:WORD_1 src1_sel:DWORD
	v_fma_f16 v56, v54, s17, -v56
	v_add_f16_e32 v38, v56, v38
	v_fma_f16 v56, v13, s22, v57
	v_add_f16_e32 v40, v56, v40
	v_mul_f16_sdwa v56, v13, s20 dst_sel:DWORD dst_unused:UNUSED_PAD src0_sel:WORD_1 src1_sel:DWORD
	v_fma_f16 v58, v13, s15, v57
	v_fma_f16 v57, v54, s14, v56
	v_add_f16_e32 v43, v57, v43
	v_mul_f16_sdwa v57, v54, s14 dst_sel:DWORD dst_unused:UNUSED_PAD src0_sel:WORD_1 src1_sel:DWORD
	v_fma_f16 v56, v54, s14, -v56
	v_add_f16_e32 v42, v56, v42
	v_fma_f16 v56, v13, s20, v57
	v_add_f16_e32 v44, v56, v44
	v_mul_f16_sdwa v56, v13, s23 dst_sel:DWORD dst_unused:UNUSED_PAD src0_sel:WORD_1 src1_sel:DWORD
	v_add_f16_e32 v41, v58, v41
	v_fma_f16 v58, v13, s26, v57
	v_fma_f16 v57, v54, s24, v56
	v_add_f16_e32 v47, v57, v47
	v_mul_f16_sdwa v57, v54, s24 dst_sel:DWORD dst_unused:UNUSED_PAD src0_sel:WORD_1 src1_sel:DWORD
	v_fma_f16 v56, v54, s24, -v56
	v_add_f16_e32 v46, v56, v46
	v_fma_f16 v56, v13, s23, v57
	v_add_f16_e32 v48, v56, v48
	v_pk_add_f16 v56, v15, v7
	v_pk_add_f16 v7, v7, v15 neg_lo:[0,1] neg_hi:[0,1]
	v_pk_mul_f16 v15, v7, s23 op_sel_hi:[1,0]
	v_add_f16_e32 v45, v58, v45
	v_fma_f16 v58, v13, s25, v57
	v_pk_fma_f16 v57, v56, s24, v15 op_sel:[0,0,1] op_sel_hi:[1,0,0]
	v_pk_fma_f16 v15, v56, s24, v15 op_sel:[0,0,1] op_sel_hi:[1,0,0] neg_lo:[0,0,1] neg_hi:[0,0,1]
	v_add_f16_e32 v49, v58, v49
	v_bfi_b32 v58, s8, v57, v15
	v_pk_add_f16 v37, v58, v37
	v_mul_f16_sdwa v58, v7, s26 dst_sel:DWORD dst_unused:UNUSED_PAD src0_sel:WORD_1 src1_sel:DWORD
	v_fma_f16 v59, v56, s14, v58
	v_add_f16_e32 v39, v59, v39
	v_mul_f16_sdwa v59, v56, s14 dst_sel:DWORD dst_unused:UNUSED_PAD src0_sel:WORD_1 src1_sel:DWORD
	v_fma_f16 v58, v56, s14, -v58
	v_add_f16_e32 v38, v58, v38
	v_fma_f16 v58, v7, s26, v59
	v_add_f16_e32 v40, v58, v40
	v_mul_f16_sdwa v58, v7, s18 dst_sel:DWORD dst_unused:UNUSED_PAD src0_sel:WORD_1 src1_sel:DWORD
	v_fma_f16 v60, v7, s20, v59
	v_fma_f16 v59, v56, s21, v58
	v_add_f16_e32 v43, v59, v43
	v_mul_f16_sdwa v59, v56, s21 dst_sel:DWORD dst_unused:UNUSED_PAD src0_sel:WORD_1 src1_sel:DWORD
	v_fma_f16 v58, v56, s21, -v58
	v_add_f16_e32 v42, v58, v42
	v_fma_f16 v58, v7, s18, v59
	v_add_f16_e32 v44, v58, v44
	v_mul_f16_sdwa v58, v7, s9 dst_sel:DWORD dst_unused:UNUSED_PAD src0_sel:WORD_1 src1_sel:DWORD
	v_add_f16_e32 v41, v60, v41
	v_fma_f16 v60, v7, s27, v59
	v_fma_f16 v59, v56, s16, v58
	v_add_f16_e32 v47, v59, v47
	v_mul_f16_sdwa v59, v56, s16 dst_sel:DWORD dst_unused:UNUSED_PAD src0_sel:WORD_1 src1_sel:DWORD
	v_mad_u32_u24 v33, v27, 40, v0
	v_add_f16_e32 v45, v60, v45
	v_fma_f16 v60, v7, s19, v59
	s_waitcnt lgkmcnt(0)
	; wave barrier
	v_add_f16_e32 v49, v60, v49
	ds_write2_b32 v33, v34, v37 offset1:1
	v_pack_b32_f16 v34, v43, v45
	v_pack_b32_f16 v37, v39, v41
	ds_write2_b32 v33, v37, v34 offset0:2 offset1:3
	v_pack_b32_f16 v34, v47, v49
	ds_write_b32 v33, v34 offset:16
	v_pk_mul_f16 v34, v35, s24 op_sel_hi:[1,0]
	v_pk_fma_f16 v35, v36, s23, v34 op_sel:[0,0,1] op_sel_hi:[1,0,0]
	v_pk_fma_f16 v34, v36, s23, v34 op_sel:[0,0,1] op_sel_hi:[1,0,0] neg_lo:[1,0,0] neg_hi:[1,0,0]
	v_alignbit_b32 v36, s0, v5, 16
	v_alignbit_b32 v37, s0, v35, 16
	v_pk_add_f16 v35, v36, v35
	v_pk_mul_f16 v36, v50, s14 op_sel_hi:[1,0]
	v_pk_add_f16 v34, v5, v34 op_sel:[1,0] op_sel_hi:[0,1]
	v_pk_fma_f16 v39, v9, s26, v36 op_sel:[0,0,1] op_sel_hi:[1,0,0]
	v_pk_fma_f16 v9, v9, s26, v36 op_sel:[0,0,1] op_sel_hi:[1,0,0] neg_lo:[1,0,0] neg_hi:[1,0,0]
	v_pk_add_f16 v9, v9, v34
	v_pk_add_f16 v34, v39, v35
	v_pk_mul_f16 v35, v52, s21 op_sel_hi:[1,0]
	v_pk_fma_f16 v36, v11, s18, v35 op_sel:[0,0,1] op_sel_hi:[1,0,0]
	v_pk_fma_f16 v11, v11, s18, v35 op_sel:[0,0,1] op_sel_hi:[1,0,0] neg_lo:[1,0,0] neg_hi:[1,0,0]
	v_pk_add_f16 v9, v11, v9
	v_pk_add_f16 v11, v36, v34
	v_pk_mul_f16 v34, v54, s16 op_sel_hi:[1,0]
	v_pk_add_f16 v37, v5, v37
	v_alignbit_b32 v41, s0, v39, 16
	v_pk_fma_f16 v35, v13, s9, v34 op_sel:[0,0,1] op_sel_hi:[1,0,0]
	v_pk_fma_f16 v13, v13, s9, v34 op_sel:[0,0,1] op_sel_hi:[1,0,0] neg_lo:[1,0,0] neg_hi:[1,0,0]
	v_pk_add_f16 v37, v41, v37
	v_alignbit_b32 v39, s0, v36, 16
	v_pk_add_f16 v9, v13, v9
	v_pk_mul_f16 v13, v56, s17 op_sel_hi:[1,0]
	v_fma_f16 v58, v56, s16, -v58
	v_pk_add_f16 v37, v39, v37
	v_alignbit_b32 v36, s0, v35, 16
	v_pk_fma_f16 v34, v7, s15, v13 op_sel:[0,0,1] op_sel_hi:[1,0,0]
	v_add_f16_e32 v46, v58, v46
	v_fma_f16 v58, v7, s9, v59
	v_pk_add_f16 v36, v36, v37
	v_pk_add_f16 v11, v35, v11
	v_alignbit_b32 v35, s0, v34, 16
	v_pk_fma_f16 v7, v7, s15, v13 op_sel:[0,0,1] op_sel_hi:[1,0,0] neg_lo:[1,0,0] neg_hi:[1,0,0]
	v_pk_add_f16 v35, v35, v36
	v_pk_add_f16 v7, v7, v9
	;; [unrolled: 1-line block ×3, first 2 shown]
	v_add_f16_e32 v48, v58, v48
	v_alignbit_b32 v9, v9, v7, 16
	v_pack_b32_f16 v7, v35, v7
	ds_write2_b32 v33, v7, v9 offset0:5 offset1:6
	v_pack_b32_f16 v7, v42, v44
	v_pack_b32_f16 v9, v46, v48
	ds_write2_b32 v33, v9, v7 offset0:7 offset1:8
	v_bfi_b32 v7, s8, v25, v17
	v_pk_add_f16 v5, v5, v7
	v_bfi_b32 v7, s8, v23, v51
	v_pk_add_f16 v5, v7, v5
	v_bfi_b32 v7, s8, v21, v53
	v_pk_add_f16 v5, v7, v5
	v_bfi_b32 v7, s8, v19, v55
	v_pk_add_f16 v5, v7, v5
	v_bfi_b32 v7, s8, v15, v57
	v_pk_add_f16 v5, v7, v5
	v_pack_b32_f16 v7, v38, v40
	v_cmp_gt_u32_e64 s[0:1], 20, v27
	ds_write2_b32 v33, v7, v5 offset0:9 offset1:10
	s_and_saveexec_b64 s[6:7], s[0:1]
	s_cbranch_execz .LBB0_15
; %bb.14:
	v_pk_add_f16 v5, v6, v18
	v_pk_add_f16 v5, v5, v10
	;; [unrolled: 1-line block ×7, first 2 shown]
	v_pk_add_f16 v9, v18, v26 neg_lo:[0,1] neg_hi:[0,1]
	v_pk_add_f16 v11, v24, v10
	v_pk_add_f16 v17, v16, v8
	v_pk_add_f16 v8, v8, v16 neg_lo:[0,1] neg_hi:[0,1]
	v_mul_f16_sdwa v16, v7, s21 dst_sel:DWORD dst_unused:UNUSED_PAD src0_sel:WORD_1 src1_sel:DWORD
	v_pk_add_f16 v10, v10, v24 neg_lo:[0,1] neg_hi:[0,1]
	v_fma_f16 v18, v9, s27, v16
	v_mul_f16_sdwa v19, v11, s17 dst_sel:DWORD dst_unused:UNUSED_PAD src0_sel:WORD_1 src1_sel:DWORD
	v_pk_add_f16 v5, v5, v20
	v_pk_add_f16 v13, v22, v12
	;; [unrolled: 1-line block ×3, first 2 shown]
	v_pk_add_f16 v14, v14, v20 neg_lo:[0,1] neg_hi:[0,1]
	v_add_f16_sdwa v18, v6, v18 dst_sel:DWORD dst_unused:UNUSED_PAD src0_sel:WORD_1 src1_sel:DWORD
	v_fma_f16 v20, v10, s15, v19
	v_pk_add_f16 v12, v12, v22 neg_lo:[0,1] neg_hi:[0,1]
	v_add_f16_e32 v18, v20, v18
	v_mul_f16_sdwa v20, v13, s14 dst_sel:DWORD dst_unused:UNUSED_PAD src0_sel:WORD_1 src1_sel:DWORD
	v_fma_f16 v21, v12, s26, v20
	v_add_f16_e32 v18, v21, v18
	v_mul_f16_sdwa v21, v15, s24 dst_sel:DWORD dst_unused:UNUSED_PAD src0_sel:WORD_1 src1_sel:DWORD
	v_pk_add_f16 v5, v5, v22
	v_fma_f16 v22, v14, s25, v21
	v_add_f16_e32 v18, v22, v18
	v_mul_f16_sdwa v22, v17, s16 dst_sel:DWORD dst_unused:UNUSED_PAD src0_sel:WORD_1 src1_sel:DWORD
	v_fma_f16 v23, v8, s19, v22
	v_add_f16_e32 v18, v23, v18
	v_mul_f16_sdwa v23, v9, s18 dst_sel:DWORD dst_unused:UNUSED_PAD src0_sel:WORD_1 src1_sel:DWORD
	v_pk_add_f16 v5, v5, v24
	v_fma_f16 v24, v7, s21, v23
	v_mul_f16_sdwa v25, v10, s22 dst_sel:DWORD dst_unused:UNUSED_PAD src0_sel:WORD_1 src1_sel:DWORD
	v_pk_add_f16 v5, v5, v26
	v_add_f16_e32 v24, v6, v24
	v_fma_f16 v26, v11, s17, v25
	v_add_f16_e32 v24, v26, v24
	v_mul_f16_sdwa v26, v12, s20 dst_sel:DWORD dst_unused:UNUSED_PAD src0_sel:WORD_1 src1_sel:DWORD
	v_fma_f16 v34, v13, s14, v26
	v_add_f16_e32 v24, v34, v24
	v_mul_f16_sdwa v34, v14, s23 dst_sel:DWORD dst_unused:UNUSED_PAD src0_sel:WORD_1 src1_sel:DWORD
	v_fma_f16 v35, v15, s24, v34
	v_add_f16_e32 v24, v35, v24
	v_mul_f16_sdwa v35, v8, s9 dst_sel:DWORD dst_unused:UNUSED_PAD src0_sel:WORD_1 src1_sel:DWORD
	v_fma_f16 v36, v17, s16, v35
	v_add_f16_e32 v24, v36, v24
	v_mul_f16_sdwa v36, v7, s17 dst_sel:DWORD dst_unused:UNUSED_PAD src0_sel:WORD_1 src1_sel:DWORD
	v_fma_f16 v37, v9, s22, v36
	v_mul_f16_sdwa v38, v11, s24 dst_sel:DWORD dst_unused:UNUSED_PAD src0_sel:WORD_1 src1_sel:DWORD
	v_add_f16_sdwa v37, v6, v37 dst_sel:DWORD dst_unused:UNUSED_PAD src0_sel:WORD_1 src1_sel:DWORD
	v_fma_f16 v39, v10, s23, v38
	v_add_f16_e32 v37, v39, v37
	v_mul_f16_sdwa v39, v13, s16 dst_sel:DWORD dst_unused:UNUSED_PAD src0_sel:WORD_1 src1_sel:DWORD
	v_fma_f16 v40, v12, s19, v39
	v_add_f16_e32 v37, v40, v37
	v_mul_f16_sdwa v40, v15, s14 dst_sel:DWORD dst_unused:UNUSED_PAD src0_sel:WORD_1 src1_sel:DWORD
	;; [unrolled: 3-line block ×4, first 2 shown]
	v_fma_f16 v43, v7, s17, v42
	v_mul_f16_sdwa v44, v10, s25 dst_sel:DWORD dst_unused:UNUSED_PAD src0_sel:WORD_1 src1_sel:DWORD
	v_add_f16_e32 v43, v6, v43
	v_fma_f16 v45, v11, s24, v44
	v_add_f16_e32 v43, v45, v43
	v_mul_f16_sdwa v45, v12, s9 dst_sel:DWORD dst_unused:UNUSED_PAD src0_sel:WORD_1 src1_sel:DWORD
	v_fma_f16 v46, v13, s16, v45
	v_add_f16_e32 v43, v46, v43
	v_mul_f16_sdwa v46, v14, s20 dst_sel:DWORD dst_unused:UNUSED_PAD src0_sel:WORD_1 src1_sel:DWORD
	v_fma_f16 v47, v15, s14, v46
	v_add_f16_e32 v43, v47, v43
	v_mul_f16_sdwa v47, v8, s18 dst_sel:DWORD dst_unused:UNUSED_PAD src0_sel:WORD_1 src1_sel:DWORD
	v_fma_f16 v48, v17, s21, v47
	v_add_f16_e32 v43, v48, v43
	v_mul_f16_sdwa v48, v7, s16 dst_sel:DWORD dst_unused:UNUSED_PAD src0_sel:WORD_1 src1_sel:DWORD
	v_fma_f16 v49, v9, s9, v48
	v_mul_f16_sdwa v50, v11, s21 dst_sel:DWORD dst_unused:UNUSED_PAD src0_sel:WORD_1 src1_sel:DWORD
	v_add_f16_sdwa v49, v6, v49 dst_sel:DWORD dst_unused:UNUSED_PAD src0_sel:WORD_1 src1_sel:DWORD
	v_fma_f16 v51, v10, s27, v50
	v_fma_f16 v16, v9, s18, v16
	v_add_f16_e32 v49, v51, v49
	v_mul_f16_sdwa v51, v13, s24 dst_sel:DWORD dst_unused:UNUSED_PAD src0_sel:WORD_1 src1_sel:DWORD
	v_add_f16_sdwa v16, v6, v16 dst_sel:DWORD dst_unused:UNUSED_PAD src0_sel:WORD_1 src1_sel:DWORD
	v_fma_f16 v19, v10, s22, v19
	v_fma_f16 v52, v12, s23, v51
	v_add_f16_e32 v16, v19, v16
	v_fma_f16 v19, v12, s20, v20
	v_add_f16_e32 v49, v52, v49
	v_mul_f16_sdwa v52, v15, s17 dst_sel:DWORD dst_unused:UNUSED_PAD src0_sel:WORD_1 src1_sel:DWORD
	v_add_f16_e32 v16, v19, v16
	v_fma_f16 v19, v14, s23, v21
	v_fma_f16 v53, v14, s15, v52
	v_add_f16_e32 v16, v19, v16
	v_fma_f16 v19, v8, s9, v22
	v_add_f16_e32 v49, v53, v49
	v_mul_f16_sdwa v53, v17, s14 dst_sel:DWORD dst_unused:UNUSED_PAD src0_sel:WORD_1 src1_sel:DWORD
	v_add_f16_e32 v16, v19, v16
	v_fma_f16 v19, v7, s21, -v23
	v_fma_f16 v54, v8, s20, v53
	v_add_f16_e32 v19, v6, v19
	v_fma_f16 v20, v11, s17, -v25
	v_add_f16_e32 v49, v54, v49
	v_mul_f16_sdwa v54, v9, s19 dst_sel:DWORD dst_unused:UNUSED_PAD src0_sel:WORD_1 src1_sel:DWORD
	v_add_f16_e32 v19, v20, v19
	v_fma_f16 v20, v13, s14, -v26
	v_fma_f16 v55, v7, s16, v54
	v_mul_f16_sdwa v56, v10, s18 dst_sel:DWORD dst_unused:UNUSED_PAD src0_sel:WORD_1 src1_sel:DWORD
	v_add_f16_e32 v19, v20, v19
	v_fma_f16 v20, v15, s24, -v34
	v_add_f16_e32 v55, v6, v55
	v_fma_f16 v57, v11, s21, v56
	v_add_f16_e32 v19, v20, v19
	v_fma_f16 v20, v17, s16, -v35
	v_add_f16_e32 v55, v57, v55
	v_mul_f16_sdwa v57, v12, s25 dst_sel:DWORD dst_unused:UNUSED_PAD src0_sel:WORD_1 src1_sel:DWORD
	v_add_f16_e32 v19, v20, v19
	v_fma_f16 v20, v9, s15, v36
	v_fma_f16 v58, v13, s24, v57
	v_add_f16_sdwa v20, v6, v20 dst_sel:DWORD dst_unused:UNUSED_PAD src0_sel:WORD_1 src1_sel:DWORD
	v_fma_f16 v21, v10, s25, v38
	v_add_f16_e32 v55, v58, v55
	v_mul_f16_sdwa v58, v14, s22 dst_sel:DWORD dst_unused:UNUSED_PAD src0_sel:WORD_1 src1_sel:DWORD
	v_add_f16_e32 v20, v21, v20
	v_fma_f16 v22, v12, s9, v39
	v_fma_f16 v59, v15, s17, v58
	v_add_f16_e32 v20, v22, v20
	v_fma_f16 v22, v14, s20, v40
	v_add_f16_e32 v55, v59, v55
	v_mul_f16_sdwa v59, v8, s26 dst_sel:DWORD dst_unused:UNUSED_PAD src0_sel:WORD_1 src1_sel:DWORD
	v_add_f16_e32 v20, v22, v20
	v_fma_f16 v22, v8, s18, v41
	v_fma_f16 v60, v17, s14, v59
	v_add_f16_e32 v20, v22, v20
	v_fma_f16 v22, v7, s17, -v42
	v_add_f16_e32 v55, v60, v55
	v_pk_mul_f16 v60, v9, s20 op_sel_hi:[1,0]
	v_add_f16_e32 v22, v6, v22
	v_fma_f16 v23, v11, s24, -v44
	v_pk_fma_f16 v61, v7, s14, v60 op_sel:[0,0,1] op_sel_hi:[1,0,0]
	v_pk_fma_f16 v60, v7, s14, v60 op_sel:[0,0,1] op_sel_hi:[1,0,0] neg_lo:[0,0,1] neg_hi:[0,0,1]
	v_pk_mul_f16 v63, v10, s19 op_sel_hi:[1,0]
	v_add_f16_e32 v22, v23, v22
	v_fma_f16 v23, v13, s16, -v45
	v_bfi_b32 v62, s8, v61, v60
	v_pk_fma_f16 v64, v11, s16, v63 op_sel:[0,0,1] op_sel_hi:[1,0,0]
	v_pk_fma_f16 v63, v11, s16, v63 op_sel:[0,0,1] op_sel_hi:[1,0,0] neg_lo:[0,0,1] neg_hi:[0,0,1]
	v_add_f16_e32 v22, v23, v22
	v_fma_f16 v23, v15, s14, -v46
	v_pk_add_f16 v62, v6, v62
	v_bfi_b32 v65, s8, v64, v63
	v_add_f16_e32 v22, v23, v22
	v_fma_f16 v23, v17, s21, -v47
	v_pk_add_f16 v62, v65, v62
	v_pk_mul_f16 v65, v12, s15 op_sel_hi:[1,0]
	v_add_f16_e32 v22, v23, v22
	v_fma_f16 v23, v9, s19, v48
	v_pk_fma_f16 v66, v13, s17, v65 op_sel:[0,0,1] op_sel_hi:[1,0,0]
	v_pk_fma_f16 v65, v13, s17, v65 op_sel:[0,0,1] op_sel_hi:[1,0,0] neg_lo:[0,0,1] neg_hi:[0,0,1]
	v_add_f16_sdwa v23, v6, v23 dst_sel:DWORD dst_unused:UNUSED_PAD src0_sel:WORD_1 src1_sel:DWORD
	v_fma_f16 v25, v10, s18, v50
	v_bfi_b32 v67, s8, v66, v65
	v_add_f16_e32 v23, v25, v23
	v_fma_f16 v25, v12, s25, v51
	v_pk_add_f16 v62, v67, v62
	v_pk_mul_f16 v67, v14, s18 op_sel_hi:[1,0]
	v_add_f16_e32 v23, v25, v23
	v_fma_f16 v25, v14, s22, v52
	v_pk_fma_f16 v68, v15, s21, v67 op_sel:[0,0,1] op_sel_hi:[1,0,0]
	v_pk_fma_f16 v67, v15, s21, v67 op_sel:[0,0,1] op_sel_hi:[1,0,0] neg_lo:[0,0,1] neg_hi:[0,0,1]
	v_add_f16_e32 v23, v25, v23
	v_fma_f16 v25, v8, s26, v53
	v_bfi_b32 v69, s8, v68, v67
	v_add_f16_e32 v23, v25, v23
	v_fma_f16 v25, v7, s16, -v54
	v_pk_add_f16 v62, v69, v62
	v_pk_mul_f16 v69, v8, s23 op_sel_hi:[1,0]
	v_add_f16_e32 v25, v6, v25
	v_fma_f16 v26, v11, s21, -v56
	v_pk_fma_f16 v70, v17, s24, v69 op_sel:[0,0,1] op_sel_hi:[1,0,0]
	v_pk_fma_f16 v69, v17, s24, v69 op_sel:[0,0,1] op_sel_hi:[1,0,0] neg_lo:[0,0,1] neg_hi:[0,0,1]
	v_add_f16_e32 v25, v26, v25
	v_fma_f16 v26, v13, s24, -v57
	v_bfi_b32 v71, s8, v70, v69
	v_add_f16_e32 v25, v26, v25
	v_fma_f16 v26, v15, s17, -v58
	v_pk_add_f16 v62, v71, v62
	v_mad_i32_i24 v21, v28, 44, 0
	v_add_f16_e32 v25, v26, v25
	v_fma_f16 v26, v17, s14, -v59
	v_add_f16_e32 v25, v26, v25
	ds_write2_b32 v21, v5, v62 offset1:1
	v_pack_b32_f16 v5, v43, v37
	v_pack_b32_f16 v26, v55, v49
	ds_write2_b32 v21, v26, v5 offset0:2 offset1:3
	v_pack_b32_f16 v5, v24, v18
	ds_write_b32 v21, v5 offset:16
	v_pk_mul_f16 v5, v7, s24 op_sel_hi:[1,0]
	v_pk_fma_f16 v7, v9, s23, v5 op_sel:[0,0,1] op_sel_hi:[1,0,0]
	v_pk_mul_f16 v11, v11, s14 op_sel_hi:[1,0]
	v_alignbit_b32 v18, s0, v7, 16
	v_pk_fma_f16 v24, v10, s26, v11 op_sel:[0,0,1] op_sel_hi:[1,0,0]
	v_pk_add_f16 v18, v6, v18
	v_alignbit_b32 v26, s0, v24, 16
	v_pk_mul_f16 v13, v13, s21 op_sel_hi:[1,0]
	v_pk_add_f16 v18, v26, v18
	v_pk_fma_f16 v26, v12, s18, v13 op_sel:[0,0,1] op_sel_hi:[1,0,0]
	v_alignbit_b32 v34, s0, v26, 16
	v_pk_mul_f16 v15, v15, s16 op_sel_hi:[1,0]
	v_pk_add_f16 v18, v34, v18
	v_pk_fma_f16 v34, v14, s9, v15 op_sel:[0,0,1] op_sel_hi:[1,0,0]
	;; [unrolled: 4-line block ×3, first 2 shown]
	v_alignbit_b32 v36, s0, v35, 16
	v_pk_add_f16 v18, v36, v18
	v_alignbit_b32 v36, s0, v6, 16
	v_pk_fma_f16 v5, v9, s23, v5 op_sel:[0,0,1] op_sel_hi:[1,0,0] neg_lo:[1,0,0] neg_hi:[1,0,0]
	v_pk_add_f16 v7, v36, v7
	v_pk_add_f16 v5, v6, v5 op_sel:[1,0] op_sel_hi:[0,1]
	v_pk_fma_f16 v9, v10, s26, v11 op_sel:[0,0,1] op_sel_hi:[1,0,0] neg_lo:[1,0,0] neg_hi:[1,0,0]
	v_pk_add_f16 v7, v24, v7
	v_pk_add_f16 v5, v9, v5
	v_pk_fma_f16 v9, v12, s18, v13 op_sel:[0,0,1] op_sel_hi:[1,0,0] neg_lo:[1,0,0] neg_hi:[1,0,0]
	v_pk_add_f16 v7, v26, v7
	v_pk_add_f16 v5, v9, v5
	;; [unrolled: 3-line block ×4, first 2 shown]
	v_alignbit_b32 v7, v7, v5, 16
	v_pack_b32_f16 v5, v18, v5
	ds_write2_b32 v21, v5, v7 offset0:5 offset1:6
	v_pack_b32_f16 v5, v22, v20
	v_pack_b32_f16 v7, v19, v16
	ds_write2_b32 v21, v7, v5 offset0:7 offset1:8
	v_bfi_b32 v5, s8, v60, v61
	v_pk_add_f16 v5, v6, v5
	v_bfi_b32 v6, s8, v63, v64
	v_pk_add_f16 v5, v6, v5
	v_bfi_b32 v6, s8, v65, v66
	v_pk_add_f16 v5, v6, v5
	v_bfi_b32 v6, s8, v67, v68
	v_pk_add_f16 v5, v6, v5
	v_bfi_b32 v6, s8, v69, v70
	v_pk_add_f16 v5, v6, v5
	v_pack_b32_f16 v6, v25, v23
	ds_write2_b32 v21, v6, v5 offset0:9 offset1:10
.LBB0_15:
	s_or_b64 exec, exec, s[6:7]
	s_movk_i32 s0, 0x75
	v_mul_lo_u16_sdwa v5, v27, s0 dst_sel:DWORD dst_unused:UNUSED_PAD src0_sel:BYTE_0 src1_sel:DWORD
	v_sub_u16_sdwa v6, v27, v5 dst_sel:DWORD dst_unused:UNUSED_PAD src0_sel:DWORD src1_sel:BYTE_1
	v_lshrrev_b16_e32 v6, 1, v6
	v_and_b32_e32 v6, 0x7f, v6
	v_add_u16_sdwa v5, v6, v5 dst_sel:DWORD dst_unused:UNUSED_PAD src0_sel:DWORD src1_sel:BYTE_1
	v_lshrrev_b16_e32 v42, 3, v5
	v_mul_lo_u16_e32 v5, 11, v42
	v_sub_u16_e32 v43, v27, v5
	v_mov_b32_e32 v5, 4
	v_mul_lo_u16_sdwa v7, v28, s0 dst_sel:DWORD dst_unused:UNUSED_PAD src0_sel:BYTE_0 src1_sel:DWORD
	v_lshlrev_b32_sdwa v6, v5, v43 dst_sel:DWORD dst_unused:UNUSED_PAD src0_sel:DWORD src1_sel:BYTE_0
	v_sub_u16_sdwa v8, v28, v7 dst_sel:DWORD dst_unused:UNUSED_PAD src0_sel:DWORD src1_sel:BYTE_1
	s_waitcnt lgkmcnt(0)
	; wave barrier
	s_waitcnt lgkmcnt(0)
	global_load_dwordx4 v[9:12], v6, s[12:13]
	v_lshrrev_b16_e32 v6, 1, v8
	v_and_b32_e32 v6, 0x7f, v6
	v_add_u16_sdwa v6, v6, v7 dst_sel:DWORD dst_unused:UNUSED_PAD src0_sel:DWORD src1_sel:BYTE_1
	v_lshrrev_b16_e32 v44, 3, v6
	v_mul_lo_u16_e32 v6, 11, v44
	v_sub_u16_e32 v45, v28, v6
	v_lshlrev_b32_sdwa v6, v5, v45 dst_sel:DWORD dst_unused:UNUSED_PAD src0_sel:DWORD src1_sel:BYTE_0
	v_add_u32_e32 v8, 0x6e, v27
	global_load_dwordx4 v[13:16], v6, s[12:13]
	v_mul_lo_u16_sdwa v6, v8, s0 dst_sel:DWORD dst_unused:UNUSED_PAD src0_sel:BYTE_0 src1_sel:DWORD
	v_sub_u16_sdwa v7, v8, v6 dst_sel:DWORD dst_unused:UNUSED_PAD src0_sel:DWORD src1_sel:BYTE_1
	v_lshrrev_b16_e32 v7, 1, v7
	v_and_b32_e32 v7, 0x7f, v7
	v_add_u16_sdwa v6, v7, v6 dst_sel:DWORD dst_unused:UNUSED_PAD src0_sel:DWORD src1_sel:BYTE_1
	v_lshrrev_b16_e32 v46, 3, v6
	v_mul_lo_u16_e32 v6, 11, v46
	v_sub_u16_e32 v47, v8, v6
	v_lshlrev_b32_sdwa v5, v5, v47 dst_sel:DWORD dst_unused:UNUSED_PAD src0_sel:DWORD src1_sel:BYTE_0
	global_load_dwordx4 v[17:20], v5, s[12:13]
	ds_read2_b32 v[21:22], v0 offset1:220
	ds_read2_b32 v[23:24], v29 offset0:19 offset1:74
	ds_read2_b32 v[25:26], v30 offset0:93 offset1:148
	;; [unrolled: 1-line block ×4, first 2 shown]
	s_movk_i32 s0, 0xffd8
	v_add_u32_e32 v7, 0x600, v0
	s_waitcnt lgkmcnt(4)
	v_lshrrev_b32_e32 v50, 16, v22
	v_lshl_add_u32 v6, v28, 2, 0
	v_mad_i32_i24 v5, v27, s0, v33
	ds_read2_b32 v[38:39], v7 offset0:111 offset1:166
	ds_read_b32 v33, v6
	ds_read2_b32 v[40:41], v5 offset0:110 offset1:165
	s_waitcnt lgkmcnt(3)
	v_lshrrev_b32_e32 v52, 16, v36
	v_mov_b32_e32 v48, 2
	v_lshrrev_b32_e32 v53, 16, v23
	v_lshrrev_b32_e32 v54, 16, v35
	;; [unrolled: 1-line block ×3, first 2 shown]
	s_waitcnt lgkmcnt(2)
	v_lshrrev_b32_e32 v61, 16, v38
	v_lshrrev_b32_e32 v58, 16, v26
	s_waitcnt lgkmcnt(0)
	v_lshrrev_b32_e32 v63, 16, v41
	v_lshrrev_b32_e32 v51, 16, v34
	;; [unrolled: 1-line block ×3, first 2 shown]
	v_lshlrev_b32_sdwa v43, v48, v43 dst_sel:DWORD dst_unused:UNUSED_PAD src0_sel:DWORD src1_sel:BYTE_0
	v_lshlrev_b32_sdwa v45, v48, v45 dst_sel:DWORD dst_unused:UNUSED_PAD src0_sel:DWORD src1_sel:BYTE_0
	v_lshrrev_b32_e32 v56, 16, v37
	s_mov_b32 s7, 0xbb9c
	s_movk_i32 s9, 0x3b9c
	s_mov_b32 s6, 0xb8b4
	s_movk_i32 s14, 0x38b4
	s_movk_i32 s8, 0x34f2
	v_lshrrev_b32_e32 v49, 16, v21
	v_lshrrev_b32_e32 v60, 16, v39
	;; [unrolled: 1-line block ×4, first 2 shown]
	s_waitcnt lgkmcnt(0)
	; wave barrier
	s_waitcnt vmcnt(2)
	v_mul_f16_sdwa v66, v10, v57 dst_sel:DWORD dst_unused:UNUSED_PAD src0_sel:WORD_1 src1_sel:DWORD
	v_mul_f16_sdwa v68, v11, v61 dst_sel:DWORD dst_unused:UNUSED_PAD src0_sel:WORD_1 src1_sel:DWORD
	;; [unrolled: 1-line block ×8, first 2 shown]
	v_fma_f16 v24, v10, v24, v66
	s_waitcnt vmcnt(1)
	v_mul_f16_sdwa v72, v50, v13 dst_sel:DWORD dst_unused:UNUSED_PAD src0_sel:DWORD src1_sel:WORD_1
	v_mul_f16_sdwa v73, v22, v13 dst_sel:DWORD dst_unused:UNUSED_PAD src0_sel:DWORD src1_sel:WORD_1
	v_fma_f16 v22, v22, v13, v72
	v_fma_f16 v13, v50, v13, -v73
	v_mul_f16_sdwa v50, v52, v16 dst_sel:DWORD dst_unused:UNUSED_PAD src0_sel:DWORD src1_sel:WORD_1
	v_fma_f16 v50, v36, v16, v50
	v_mul_f16_sdwa v36, v36, v16 dst_sel:DWORD dst_unused:UNUSED_PAD src0_sel:DWORD src1_sel:WORD_1
	v_fma_f16 v16, v52, v16, -v36
	v_lshlrev_b32_sdwa v36, v48, v47 dst_sel:DWORD dst_unused:UNUSED_PAD src0_sel:DWORD src1_sel:BYTE_0
	v_fma_f16 v38, v11, v38, v68
	s_waitcnt vmcnt(0)
	v_mul_f16_sdwa v47, v53, v17 dst_sel:DWORD dst_unused:UNUSED_PAD src0_sel:DWORD src1_sel:WORD_1
	v_fma_f16 v47, v23, v17, v47
	v_mul_f16_sdwa v23, v23, v17 dst_sel:DWORD dst_unused:UNUSED_PAD src0_sel:DWORD src1_sel:WORD_1
	v_fma_f16 v17, v53, v17, -v23
	v_mul_f16_sdwa v23, v54, v18 dst_sel:DWORD dst_unused:UNUSED_PAD src0_sel:DWORD src1_sel:WORD_1
	v_fma_f16 v23, v35, v18, v23
	v_mul_f16_sdwa v35, v35, v18 dst_sel:DWORD dst_unused:UNUSED_PAD src0_sel:DWORD src1_sel:WORD_1
	v_mul_f16_sdwa v74, v51, v14 dst_sel:DWORD dst_unused:UNUSED_PAD src0_sel:DWORD src1_sel:WORD_1
	;; [unrolled: 1-line block ×3, first 2 shown]
	v_fma_f16 v41, v9, v41, v64
	v_fma_f16 v9, v9, v63, -v65
	v_fma_f16 v26, v12, v26, v70
	v_fma_f16 v12, v12, v58, -v71
	v_fma_f16 v18, v54, v18, -v35
	v_mul_f16_sdwa v35, v55, v19 dst_sel:DWORD dst_unused:UNUSED_PAD src0_sel:DWORD src1_sel:WORD_1
	v_add_f16_e32 v48, v24, v38
	v_fma_f16 v10, v10, v57, -v67
	v_fma_f16 v11, v11, v61, -v69
	v_fma_f16 v34, v34, v14, v74
	v_fma_f16 v14, v51, v14, -v75
	v_fma_f16 v35, v25, v19, v35
	v_mul_f16_sdwa v25, v25, v19 dst_sel:DWORD dst_unused:UNUSED_PAD src0_sel:DWORD src1_sel:WORD_1
	v_fma_f16 v48, v48, -0.5, v21
	v_sub_f16_e32 v51, v9, v12
	v_fma_f16 v19, v55, v19, -v25
	v_mul_f16_sdwa v25, v56, v20 dst_sel:DWORD dst_unused:UNUSED_PAD src0_sel:DWORD src1_sel:WORD_1
	v_fma_f16 v52, v51, s7, v48
	v_sub_f16_e32 v53, v10, v11
	v_sub_f16_e32 v54, v41, v24
	;; [unrolled: 1-line block ×3, first 2 shown]
	v_fma_f16 v48, v51, s9, v48
	v_fma_f16 v25, v37, v20, v25
	v_mul_f16_sdwa v37, v37, v20 dst_sel:DWORD dst_unused:UNUSED_PAD src0_sel:DWORD src1_sel:WORD_1
	v_fma_f16 v52, v53, s6, v52
	v_add_f16_e32 v54, v54, v55
	v_fma_f16 v48, v53, s14, v48
	v_fma_f16 v20, v56, v20, -v37
	v_add_f16_e32 v37, v21, v41
	v_fma_f16 v52, v54, s8, v52
	v_fma_f16 v48, v54, s8, v48
	v_add_f16_e32 v54, v41, v26
	v_add_f16_e32 v37, v37, v24
	v_fma_f16 v21, v54, -0.5, v21
	v_add_f16_e32 v37, v37, v38
	v_fma_f16 v54, v53, s9, v21
	v_fma_f16 v21, v53, s7, v21
	v_add_f16_e32 v53, v10, v11
	v_add_f16_e32 v37, v37, v26
	v_sub_f16_e32 v55, v24, v41
	v_sub_f16_e32 v56, v38, v26
	v_fma_f16 v53, v53, -0.5, v49
	v_sub_f16_e32 v26, v41, v26
	v_fma_f16 v54, v51, s6, v54
	v_add_f16_e32 v55, v55, v56
	v_fma_f16 v21, v51, s14, v21
	v_fma_f16 v41, v26, s9, v53
	v_sub_f16_e32 v24, v24, v38
	v_fma_f16 v54, v55, s8, v54
	v_fma_f16 v21, v55, s8, v21
	;; [unrolled: 1-line block ×3, first 2 shown]
	v_sub_f16_e32 v41, v9, v10
	v_sub_f16_e32 v55, v12, v11
	v_fma_f16 v53, v26, s7, v53
	v_add_f16_e32 v51, v49, v9
	v_add_f16_e32 v41, v41, v55
	v_fma_f16 v53, v24, s6, v53
	v_mul_f16_sdwa v76, v60, v15 dst_sel:DWORD dst_unused:UNUSED_PAD src0_sel:DWORD src1_sel:WORD_1
	v_add_f16_e32 v51, v51, v10
	v_fma_f16 v38, v41, s8, v38
	v_fma_f16 v41, v41, s8, v53
	v_add_f16_e32 v53, v9, v12
	v_mul_f16_sdwa v77, v39, v15 dst_sel:DWORD dst_unused:UNUSED_PAD src0_sel:DWORD src1_sel:WORD_1
	v_fma_f16 v39, v39, v15, v76
	v_add_f16_e32 v51, v51, v11
	v_fma_f16 v49, v53, -0.5, v49
	v_add_f16_e32 v51, v51, v12
	v_fma_f16 v53, v24, s7, v49
	v_sub_f16_e32 v9, v10, v9
	v_sub_f16_e32 v10, v11, v12
	v_add_f16_e32 v12, v34, v39
	v_fma_f16 v15, v60, v15, -v77
	v_fma_f16 v53, v26, s14, v53
	v_add_f16_e32 v9, v9, v10
	v_fma_f16 v11, v24, s9, v49
	v_fma_f16 v12, v12, -0.5, v33
	v_sub_f16_e32 v24, v13, v16
	v_fma_f16 v10, v9, s8, v53
	v_fma_f16 v11, v26, s6, v11
	;; [unrolled: 1-line block ×3, first 2 shown]
	v_sub_f16_e32 v49, v14, v15
	v_sub_f16_e32 v53, v22, v34
	;; [unrolled: 1-line block ×3, first 2 shown]
	v_fma_f16 v12, v24, s9, v12
	v_fma_f16 v26, v49, s6, v26
	v_add_f16_e32 v53, v53, v55
	v_fma_f16 v12, v49, s14, v12
	v_fma_f16 v26, v53, s8, v26
	;; [unrolled: 1-line block ×3, first 2 shown]
	v_add_f16_e32 v53, v22, v50
	v_fma_f16 v9, v9, s8, v11
	v_add_f16_e32 v11, v33, v22
	v_fma_f16 v33, v53, -0.5, v33
	v_add_f16_e32 v11, v11, v34
	v_fma_f16 v53, v49, s9, v33
	v_fma_f16 v33, v49, s7, v33
	v_add_f16_e32 v49, v14, v15
	v_add_f16_e32 v11, v11, v39
	v_sub_f16_e32 v55, v34, v22
	v_sub_f16_e32 v56, v39, v50
	v_fma_f16 v49, v49, -0.5, v59
	v_sub_f16_e32 v22, v22, v50
	v_add_f16_e32 v11, v11, v50
	v_fma_f16 v53, v24, s6, v53
	v_add_f16_e32 v55, v55, v56
	v_fma_f16 v24, v24, s14, v33
	v_fma_f16 v50, v22, s9, v49
	v_sub_f16_e32 v34, v34, v39
	v_fma_f16 v53, v55, s8, v53
	v_fma_f16 v24, v55, s8, v24
	;; [unrolled: 1-line block ×3, first 2 shown]
	v_sub_f16_e32 v50, v13, v14
	v_sub_f16_e32 v55, v16, v15
	v_fma_f16 v49, v22, s7, v49
	v_add_f16_e32 v33, v59, v13
	v_add_f16_e32 v50, v50, v55
	v_fma_f16 v49, v34, s6, v49
	v_add_f16_e32 v33, v33, v14
	v_fma_f16 v39, v50, s8, v39
	v_fma_f16 v49, v50, s8, v49
	v_add_f16_e32 v50, v13, v16
	v_add_f16_e32 v33, v33, v15
	v_fma_f16 v50, v50, -0.5, v59
	v_add_f16_e32 v33, v33, v16
	v_fma_f16 v55, v34, s7, v50
	v_sub_f16_e32 v13, v14, v13
	v_sub_f16_e32 v14, v15, v16
	v_fma_f16 v15, v34, s9, v50
	v_add_f16_e32 v16, v23, v35
	v_fma_f16 v55, v22, s14, v55
	v_add_f16_e32 v13, v13, v14
	v_fma_f16 v15, v22, s6, v15
	v_fma_f16 v16, v16, -0.5, v40
	v_sub_f16_e32 v22, v17, v20
	v_fma_f16 v14, v13, s8, v55
	v_fma_f16 v34, v22, s7, v16
	v_sub_f16_e32 v50, v18, v19
	v_sub_f16_e32 v55, v47, v23
	;; [unrolled: 1-line block ×3, first 2 shown]
	v_fma_f16 v16, v22, s9, v16
	v_fma_f16 v34, v50, s6, v34
	v_add_f16_e32 v55, v55, v56
	v_fma_f16 v16, v50, s14, v16
	v_fma_f16 v13, v13, s8, v15
	v_add_f16_e32 v15, v40, v47
	;; [unrolled: 3-line block ×3, first 2 shown]
	v_add_f16_e32 v15, v15, v23
	v_fma_f16 v40, v55, -0.5, v40
	v_add_f16_e32 v15, v15, v35
	v_fma_f16 v55, v50, s9, v40
	v_fma_f16 v40, v50, s7, v40
	v_add_f16_e32 v50, v18, v19
	v_add_f16_e32 v15, v15, v25
	v_sub_f16_e32 v56, v23, v47
	v_sub_f16_e32 v57, v35, v25
	v_fma_f16 v50, v50, -0.5, v62
	v_sub_f16_e32 v25, v47, v25
	v_fma_f16 v55, v22, s6, v55
	v_add_f16_e32 v56, v56, v57
	v_fma_f16 v22, v22, s14, v40
	v_fma_f16 v47, v25, s9, v50
	v_sub_f16_e32 v23, v23, v35
	v_fma_f16 v55, v56, s8, v55
	v_fma_f16 v22, v56, s8, v22
	;; [unrolled: 1-line block ×3, first 2 shown]
	v_sub_f16_e32 v47, v17, v18
	v_sub_f16_e32 v56, v20, v19
	v_fma_f16 v50, v25, s7, v50
	v_add_f16_e32 v47, v47, v56
	v_fma_f16 v50, v23, s6, v50
	v_add_f16_e32 v40, v62, v17
	v_fma_f16 v35, v47, s8, v35
	v_fma_f16 v47, v47, s8, v50
	v_add_f16_e32 v50, v17, v20
	v_add_f16_e32 v40, v40, v18
	v_fma_f16 v50, v50, -0.5, v62
	v_add_f16_e32 v40, v40, v19
	v_fma_f16 v56, v23, s7, v50
	v_sub_f16_e32 v17, v18, v17
	v_sub_f16_e32 v18, v19, v20
	v_fma_f16 v19, v23, s9, v50
	v_fma_f16 v56, v25, s14, v56
	v_add_f16_e32 v17, v17, v18
	v_fma_f16 v19, v25, s6, v19
	v_fma_f16 v18, v17, s8, v56
	;; [unrolled: 1-line block ×3, first 2 shown]
	v_mul_u32_u24_e32 v19, 0xdc, v42
	v_add3_u32 v19, 0, v19, v43
	v_pack_b32_f16 v10, v54, v10
	v_pack_b32_f16 v9, v21, v9
	ds_write2_b32 v19, v10, v9 offset0:22 offset1:33
	v_pack_b32_f16 v9, v48, v41
	ds_write_b32 v19, v9 offset:176
	v_mul_u32_u24_e32 v9, 0xdc, v44
	v_add_f16_e32 v40, v40, v20
	v_pack_b32_f16 v20, v37, v51
	v_pack_b32_f16 v23, v52, v38
	v_add3_u32 v9, 0, v9, v45
	v_pack_b32_f16 v10, v11, v33
	v_pack_b32_f16 v11, v26, v39
	ds_write2_b32 v19, v20, v23 offset1:11
	ds_write2_b32 v9, v10, v11 offset1:11
	v_pack_b32_f16 v10, v53, v14
	v_pack_b32_f16 v11, v24, v13
	ds_write2_b32 v9, v10, v11 offset0:22 offset1:33
	v_pack_b32_f16 v10, v12, v49
	ds_write_b32 v9, v10 offset:176
	v_mul_u32_u24_e32 v9, 0xdc, v46
	v_add3_u32 v9, 0, v9, v36
	v_pack_b32_f16 v10, v15, v40
	v_pack_b32_f16 v11, v34, v35
	ds_write2_b32 v9, v10, v11 offset1:11
	v_pack_b32_f16 v10, v55, v18
	v_pack_b32_f16 v11, v22, v17
	ds_write2_b32 v9, v10, v11 offset0:22 offset1:33
	v_pack_b32_f16 v10, v16, v47
	v_lshlrev_b32_e32 v16, 2, v27
	v_mov_b32_e32 v17, 0
	ds_write_b32 v9, v10 offset:176
	v_lshlrev_b64 v[9:10], 2, v[16:17]
	v_mov_b32_e32 v26, s13
	v_add_co_u32_e64 v9, s[0:1], s12, v9
	v_addc_co_u32_e64 v10, s[0:1], v26, v10, s[0:1]
	s_waitcnt lgkmcnt(0)
	; wave barrier
	s_waitcnt lgkmcnt(0)
	global_load_dwordx4 v[9:12], v[9:10], off offset:176
	s_movk_i32 s0, 0x95
	v_mul_lo_u16_sdwa v13, v8, s0 dst_sel:DWORD dst_unused:UNUSED_PAD src0_sel:BYTE_0 src1_sel:DWORD
	v_lshrrev_b16_e32 v13, 13, v13
	v_mul_lo_u16_e32 v13, 55, v13
	v_sub_u16_e32 v13, v8, v13
	v_and_b32_e32 v39, 0xff, v13
	v_lshlrev_b32_e32 v13, 4, v39
	global_load_dwordx4 v[13:16], v13, s[12:13] offset:176
	ds_read2_b32 v[18:19], v0 offset1:220
	ds_read2_b32 v[20:21], v5 offset0:110 offset1:165
	ds_read2_b32 v[22:23], v29 offset0:19 offset1:74
	;; [unrolled: 1-line block ×3, first 2 shown]
	ds_read_b32 v41, v6
	ds_read2_b32 v[33:34], v29 offset0:129 offset1:184
	ds_read2_b32 v[35:36], v30 offset0:93 offset1:148
	;; [unrolled: 1-line block ×3, first 2 shown]
	ds_read_u16 v42, v0 offset:882
	s_waitcnt lgkmcnt(7)
	v_lshrrev_b32_e32 v52, 16, v21
	s_waitcnt lgkmcnt(3)
	v_lshrrev_b32_e32 v44, 16, v33
	v_lshrrev_b32_e32 v45, 16, v25
	s_waitcnt lgkmcnt(1)
	v_lshrrev_b32_e32 v46, 16, v37
	v_lshrrev_b32_e32 v48, 16, v22
	;; [unrolled: 1-line block ×8, first 2 shown]
	s_waitcnt lgkmcnt(0)
	; wave barrier
	s_waitcnt vmcnt(1) lgkmcnt(0)
	v_mul_f16_sdwa v53, v9, v52 dst_sel:DWORD dst_unused:UNUSED_PAD src0_sel:WORD_1 src1_sel:DWORD
	v_fma_f16 v53, v9, v21, v53
	v_mul_f16_sdwa v21, v9, v21 dst_sel:DWORD dst_unused:UNUSED_PAD src0_sel:WORD_1 src1_sel:DWORD
	v_fma_f16 v21, v9, v52, -v21
	v_lshrrev_b32_e32 v52, 16, v23
	v_mul_f16_sdwa v54, v10, v52 dst_sel:DWORD dst_unused:UNUSED_PAD src0_sel:WORD_1 src1_sel:DWORD
	v_fma_f16 v54, v10, v23, v54
	v_mul_f16_sdwa v23, v10, v23 dst_sel:DWORD dst_unused:UNUSED_PAD src0_sel:WORD_1 src1_sel:DWORD
	v_fma_f16 v23, v10, v52, -v23
	v_lshrrev_b32_e32 v52, 16, v24
	;; [unrolled: 5-line block ×3, first 2 shown]
	v_mul_f16_sdwa v56, v12, v52 dst_sel:DWORD dst_unused:UNUSED_PAD src0_sel:WORD_1 src1_sel:DWORD
	v_fma_f16 v56, v12, v36, v56
	v_mul_f16_sdwa v36, v12, v36 dst_sel:DWORD dst_unused:UNUSED_PAD src0_sel:WORD_1 src1_sel:DWORD
	v_fma_f16 v36, v12, v52, -v36
	v_mul_f16_sdwa v52, v42, v9 dst_sel:DWORD dst_unused:UNUSED_PAD src0_sel:DWORD src1_sel:WORD_1
	v_fma_f16 v52, v9, v19, v52
	v_mul_f16_sdwa v19, v9, v19 dst_sel:DWORD dst_unused:UNUSED_PAD src0_sel:WORD_1 src1_sel:DWORD
	v_fma_f16 v9, v42, v9, -v19
	v_mul_f16_sdwa v19, v44, v10 dst_sel:DWORD dst_unused:UNUSED_PAD src0_sel:DWORD src1_sel:WORD_1
	v_fma_f16 v19, v33, v10, v19
	v_mul_f16_sdwa v33, v33, v10 dst_sel:DWORD dst_unused:UNUSED_PAD src0_sel:DWORD src1_sel:WORD_1
	v_fma_f16 v10, v44, v10, -v33
	v_mul_f16_sdwa v33, v45, v11 dst_sel:DWORD dst_unused:UNUSED_PAD src0_sel:DWORD src1_sel:WORD_1
	v_fma_f16 v33, v25, v11, v33
	v_mul_f16_sdwa v25, v25, v11 dst_sel:DWORD dst_unused:UNUSED_PAD src0_sel:DWORD src1_sel:WORD_1
	;; [unrolled: 4-line block ×3, first 2 shown]
	v_fma_f16 v12, v46, v12, -v37
	s_waitcnt vmcnt(0)
	v_mul_f16_sdwa v37, v48, v13 dst_sel:DWORD dst_unused:UNUSED_PAD src0_sel:DWORD src1_sel:WORD_1
	v_fma_f16 v37, v22, v13, v37
	v_mul_f16_sdwa v22, v22, v13 dst_sel:DWORD dst_unused:UNUSED_PAD src0_sel:DWORD src1_sel:WORD_1
	v_fma_f16 v13, v48, v13, -v22
	v_mul_f16_sdwa v22, v49, v14 dst_sel:DWORD dst_unused:UNUSED_PAD src0_sel:DWORD src1_sel:WORD_1
	v_fma_f16 v22, v34, v14, v22
	v_mul_f16_sdwa v34, v34, v14 dst_sel:DWORD dst_unused:UNUSED_PAD src0_sel:DWORD src1_sel:WORD_1
	v_add_f16_e32 v42, v54, v55
	v_fma_f16 v14, v49, v14, -v34
	v_mul_f16_sdwa v34, v50, v15 dst_sel:DWORD dst_unused:UNUSED_PAD src0_sel:DWORD src1_sel:WORD_1
	v_fma_f16 v42, v42, -0.5, v18
	v_sub_f16_e32 v44, v21, v36
	v_fma_f16 v34, v35, v15, v34
	v_mul_f16_sdwa v35, v35, v15 dst_sel:DWORD dst_unused:UNUSED_PAD src0_sel:DWORD src1_sel:WORD_1
	v_fma_f16 v45, v44, s7, v42
	v_sub_f16_e32 v46, v23, v24
	v_sub_f16_e32 v48, v53, v54
	;; [unrolled: 1-line block ×3, first 2 shown]
	v_fma_f16 v42, v44, s9, v42
	v_fma_f16 v15, v50, v15, -v35
	v_mul_f16_sdwa v35, v51, v16 dst_sel:DWORD dst_unused:UNUSED_PAD src0_sel:DWORD src1_sel:WORD_1
	v_fma_f16 v45, v46, s6, v45
	v_add_f16_e32 v48, v48, v49
	v_fma_f16 v42, v46, s14, v42
	v_fma_f16 v35, v38, v16, v35
	v_mul_f16_sdwa v38, v38, v16 dst_sel:DWORD dst_unused:UNUSED_PAD src0_sel:DWORD src1_sel:WORD_1
	v_fma_f16 v45, v48, s8, v45
	v_fma_f16 v42, v48, s8, v42
	v_add_f16_e32 v48, v53, v56
	v_fma_f16 v16, v51, v16, -v38
	v_add_f16_e32 v38, v18, v53
	v_fma_f16 v18, v48, -0.5, v18
	v_fma_f16 v48, v46, s9, v18
	v_sub_f16_e32 v49, v54, v53
	v_sub_f16_e32 v50, v55, v56
	v_fma_f16 v18, v46, s7, v18
	v_fma_f16 v48, v44, s6, v48
	v_add_f16_e32 v49, v49, v50
	v_fma_f16 v18, v44, s14, v18
	v_add_f16_e32 v46, v23, v24
	v_fma_f16 v48, v49, s8, v48
	v_fma_f16 v18, v49, s8, v18
	v_fma_f16 v46, v46, -0.5, v40
	v_sub_f16_e32 v49, v53, v56
	v_add_f16_e32 v38, v38, v54
	v_fma_f16 v50, v49, s9, v46
	v_sub_f16_e32 v51, v54, v55
	v_sub_f16_e32 v53, v21, v23
	;; [unrolled: 1-line block ×3, first 2 shown]
	v_fma_f16 v46, v49, s7, v46
	v_add_f16_e32 v44, v40, v21
	v_fma_f16 v50, v51, s14, v50
	v_add_f16_e32 v53, v53, v54
	;; [unrolled: 2-line block ×3, first 2 shown]
	v_fma_f16 v50, v53, s8, v50
	v_fma_f16 v46, v53, s8, v46
	v_add_f16_e32 v53, v21, v36
	v_add_f16_e32 v44, v44, v24
	v_fma_f16 v40, v53, -0.5, v40
	v_add_f16_e32 v44, v44, v36
	v_fma_f16 v53, v51, s7, v40
	v_sub_f16_e32 v21, v23, v21
	v_sub_f16_e32 v23, v24, v36
	v_add_f16_e32 v36, v19, v33
	v_fma_f16 v53, v49, s14, v53
	v_add_f16_e32 v21, v21, v23
	v_fma_f16 v24, v51, s9, v40
	v_fma_f16 v36, v36, -0.5, v41
	v_sub_f16_e32 v40, v9, v12
	v_fma_f16 v23, v21, s8, v53
	v_fma_f16 v24, v49, s6, v24
	;; [unrolled: 1-line block ×3, first 2 shown]
	v_sub_f16_e32 v51, v10, v11
	v_sub_f16_e32 v53, v52, v19
	v_sub_f16_e32 v54, v25, v33
	v_fma_f16 v36, v40, s9, v36
	v_fma_f16 v49, v51, s6, v49
	v_add_f16_e32 v53, v53, v54
	v_fma_f16 v36, v51, s14, v36
	v_fma_f16 v21, v21, s8, v24
	v_add_f16_e32 v24, v41, v52
	;; [unrolled: 3-line block ×3, first 2 shown]
	v_add_f16_e32 v24, v24, v19
	v_fma_f16 v41, v53, -0.5, v41
	v_add_f16_e32 v24, v24, v33
	v_fma_f16 v53, v51, s9, v41
	v_fma_f16 v41, v51, s7, v41
	v_add_f16_e32 v51, v10, v11
	v_add_f16_e32 v38, v38, v55
	;; [unrolled: 1-line block ×3, first 2 shown]
	v_sub_f16_e32 v54, v19, v52
	v_sub_f16_e32 v55, v33, v25
	v_fma_f16 v51, v51, -0.5, v43
	v_sub_f16_e32 v25, v52, v25
	v_fma_f16 v53, v40, s6, v53
	v_add_f16_e32 v54, v54, v55
	v_fma_f16 v40, v40, s14, v41
	v_fma_f16 v52, v25, s9, v51
	v_sub_f16_e32 v19, v19, v33
	v_fma_f16 v53, v54, s8, v53
	v_fma_f16 v40, v54, s8, v40
	;; [unrolled: 1-line block ×3, first 2 shown]
	v_sub_f16_e32 v52, v9, v10
	v_sub_f16_e32 v54, v12, v11
	v_fma_f16 v51, v25, s7, v51
	v_add_f16_e32 v41, v43, v9
	v_add_f16_e32 v52, v52, v54
	v_fma_f16 v51, v19, s6, v51
	v_add_f16_e32 v41, v41, v10
	v_fma_f16 v33, v52, s8, v33
	v_fma_f16 v51, v52, s8, v51
	v_add_f16_e32 v52, v9, v12
	v_add_f16_e32 v41, v41, v11
	v_fma_f16 v43, v52, -0.5, v43
	v_add_f16_e32 v41, v41, v12
	v_fma_f16 v52, v19, s7, v43
	v_sub_f16_e32 v9, v10, v9
	v_sub_f16_e32 v10, v11, v12
	v_add_f16_e32 v12, v22, v34
	v_fma_f16 v52, v25, s14, v52
	v_add_f16_e32 v9, v9, v10
	v_fma_f16 v11, v19, s9, v43
	v_fma_f16 v12, v12, -0.5, v20
	v_sub_f16_e32 v19, v13, v16
	v_fma_f16 v10, v9, s8, v52
	v_fma_f16 v11, v25, s6, v11
	;; [unrolled: 1-line block ×3, first 2 shown]
	v_sub_f16_e32 v43, v14, v15
	v_sub_f16_e32 v52, v37, v22
	;; [unrolled: 1-line block ×3, first 2 shown]
	v_fma_f16 v12, v19, s9, v12
	v_fma_f16 v25, v43, s6, v25
	v_add_f16_e32 v52, v52, v54
	v_fma_f16 v12, v43, s14, v12
	v_fma_f16 v9, v9, s8, v11
	v_add_f16_e32 v11, v20, v37
	;; [unrolled: 3-line block ×3, first 2 shown]
	v_add_f16_e32 v11, v11, v22
	v_fma_f16 v20, v52, -0.5, v20
	v_add_f16_e32 v11, v11, v34
	v_fma_f16 v52, v43, s9, v20
	v_fma_f16 v20, v43, s7, v20
	v_add_f16_e32 v43, v14, v15
	v_add_f16_e32 v11, v11, v35
	v_sub_f16_e32 v54, v22, v37
	v_sub_f16_e32 v55, v34, v35
	v_fma_f16 v43, v43, -0.5, v47
	v_sub_f16_e32 v35, v37, v35
	v_fma_f16 v52, v19, s6, v52
	v_add_f16_e32 v54, v54, v55
	v_fma_f16 v19, v19, s14, v20
	v_fma_f16 v37, v35, s9, v43
	v_sub_f16_e32 v22, v22, v34
	v_fma_f16 v52, v54, s8, v52
	v_fma_f16 v19, v54, s8, v19
	;; [unrolled: 1-line block ×3, first 2 shown]
	v_sub_f16_e32 v37, v13, v14
	v_sub_f16_e32 v54, v16, v15
	v_fma_f16 v43, v35, s7, v43
	v_add_f16_e32 v37, v37, v54
	v_fma_f16 v43, v22, s6, v43
	v_add_f16_e32 v20, v47, v13
	v_fma_f16 v34, v37, s8, v34
	v_fma_f16 v37, v37, s8, v43
	v_add_f16_e32 v43, v13, v16
	v_add_f16_e32 v20, v20, v14
	v_fma_f16 v43, v43, -0.5, v47
	v_add_f16_e32 v20, v20, v15
	v_fma_f16 v47, v22, s7, v43
	v_sub_f16_e32 v13, v14, v13
	v_sub_f16_e32 v14, v15, v16
	v_fma_f16 v15, v22, s9, v43
	v_add_f16_e32 v38, v38, v56
	v_fma_f16 v47, v35, s14, v47
	v_add_f16_e32 v13, v13, v14
	v_fma_f16 v15, v35, s6, v15
	v_add_f16_e32 v20, v20, v16
	v_fma_f16 v14, v13, s8, v47
	v_fma_f16 v13, v13, s8, v15
	v_pack_b32_f16 v15, v38, v44
	v_pack_b32_f16 v16, v45, v50
	ds_write2_b32 v0, v15, v16 offset1:55
	v_pack_b32_f16 v15, v48, v23
	v_pack_b32_f16 v16, v18, v21
	ds_write2_b32 v0, v15, v16 offset0:110 offset1:165
	v_pack_b32_f16 v15, v42, v46
	v_pack_b32_f16 v16, v24, v41
	ds_write2_b32 v32, v15, v16 offset0:92 offset1:147
	;; [unrolled: 3-line block ×4, first 2 shown]
	v_lshl_add_u32 v9, v39, 2, 0
	v_pack_b32_f16 v10, v11, v20
	v_pack_b32_f16 v11, v25, v34
	v_add_u32_e32 v15, 0x800, v9
	ds_write2_b32 v15, v10, v11 offset0:38 offset1:93
	v_pack_b32_f16 v10, v52, v14
	v_pack_b32_f16 v11, v19, v13
	ds_write2_b32 v15, v10, v11 offset0:148 offset1:203
	v_pack_b32_f16 v10, v12, v37
	v_lshlrev_b32_e32 v16, 1, v27
	ds_write_b32 v9, v10 offset:3080
	v_lshlrev_b64 v[9:10], 2, v[16:17]
	s_waitcnt lgkmcnt(0)
	v_add_co_u32_e64 v9, s[0:1], s12, v9
	v_addc_co_u32_e64 v10, s[0:1], v26, v10, s[0:1]
	; wave barrier
	global_load_dwordx2 v[9:10], v[9:10], off offset:1056
	v_lshlrev_b32_e32 v11, 1, v28
	v_mov_b32_e32 v12, v17
	v_lshlrev_b64 v[11:12], 2, v[11:12]
	v_lshlrev_b32_e32 v13, 1, v8
	v_add_co_u32_e64 v11, s[0:1], s12, v11
	v_addc_co_u32_e64 v12, s[0:1], v26, v12, s[0:1]
	global_load_dwordx2 v[11:12], v[11:12], off offset:1056
	v_mov_b32_e32 v14, v17
	v_lshlrev_b64 v[13:14], 2, v[13:14]
	v_add_u32_e32 v18, 0x14a, v16
	v_add_co_u32_e64 v13, s[0:1], s12, v13
	v_mov_b32_e32 v19, v17
	v_addc_co_u32_e64 v14, s[0:1], v26, v14, s[0:1]
	global_load_dwordx2 v[13:14], v[13:14], off offset:1056
	v_lshlrev_b64 v[18:19], 2, v[18:19]
	v_add_u32_e32 v16, 0x1b8, v16
	v_add_co_u32_e64 v18, s[0:1], s12, v18
	v_addc_co_u32_e64 v19, s[0:1], v26, v19, s[0:1]
	global_load_dwordx2 v[18:19], v[18:19], off offset:1056
	v_lshlrev_b64 v[15:16], 2, v[16:17]
	ds_read2_b32 v[20:21], v0 offset1:220
	v_add_co_u32_e64 v15, s[0:1], s12, v15
	v_addc_co_u32_e64 v16, s[0:1], v26, v16, s[0:1]
	global_load_dwordx2 v[15:16], v[15:16], off offset:1056
	ds_read2_b32 v[22:23], v29 offset0:19 offset1:74
	ds_read_b32 v26, v6
	ds_read2_b32 v[24:25], v5 offset0:110 offset1:165
	ds_read2_b32 v[7:8], v7 offset0:111 offset1:166
	;; [unrolled: 1-line block ×4, first 2 shown]
	s_waitcnt lgkmcnt(5)
	v_lshrrev_b32_e32 v44, 16, v22
	ds_read2_b32 v[30:31], v31 offset0:75 offset1:130
	s_waitcnt lgkmcnt(3)
	v_lshrrev_b32_e32 v42, 16, v7
	s_waitcnt lgkmcnt(2)
	v_lshrrev_b32_e32 v36, 16, v28
	;; [unrolled: 2-line block ×3, first 2 shown]
	v_lshrrev_b32_e32 v39, 16, v29
	s_waitcnt lgkmcnt(0)
	v_lshrrev_b32_e32 v40, 16, v30
	v_lshrrev_b32_e32 v43, 16, v31
	;; [unrolled: 1-line block ×3, first 2 shown]
	s_mov_b32 s0, 0xbaee
	s_movk_i32 s1, 0x3aee
	v_lshrrev_b32_e32 v34, 16, v26
	v_lshrrev_b32_e32 v35, 16, v24
	;; [unrolled: 1-line block ×4, first 2 shown]
	s_waitcnt lgkmcnt(0)
	; wave barrier
	s_waitcnt vmcnt(4)
	v_mul_f16_sdwa v45, v9, v44 dst_sel:DWORD dst_unused:UNUSED_PAD src0_sel:WORD_1 src1_sel:DWORD
	v_fma_f16 v45, v9, v22, v45
	v_mul_f16_sdwa v22, v9, v22 dst_sel:DWORD dst_unused:UNUSED_PAD src0_sel:WORD_1 src1_sel:DWORD
	v_fma_f16 v9, v9, v44, -v22
	v_lshrrev_b32_e32 v22, 16, v8
	v_mul_f16_sdwa v44, v10, v22 dst_sel:DWORD dst_unused:UNUSED_PAD src0_sel:WORD_1 src1_sel:DWORD
	v_fma_f16 v44, v10, v8, v44
	v_mul_f16_sdwa v8, v10, v8 dst_sel:DWORD dst_unused:UNUSED_PAD src0_sel:WORD_1 src1_sel:DWORD
	v_fma_f16 v8, v10, v22, -v8
	v_lshrrev_b32_e32 v10, 16, v23
	s_waitcnt vmcnt(3)
	v_mul_f16_sdwa v22, v11, v10 dst_sel:DWORD dst_unused:UNUSED_PAD src0_sel:WORD_1 src1_sel:DWORD
	v_fma_f16 v22, v11, v23, v22
	v_mul_f16_sdwa v23, v11, v23 dst_sel:DWORD dst_unused:UNUSED_PAD src0_sel:WORD_1 src1_sel:DWORD
	v_fma_f16 v10, v11, v10, -v23
	v_lshrrev_b32_e32 v11, 16, v32
	v_mul_f16_sdwa v23, v12, v11 dst_sel:DWORD dst_unused:UNUSED_PAD src0_sel:WORD_1 src1_sel:DWORD
	v_fma_f16 v23, v12, v32, v23
	v_mul_f16_sdwa v32, v12, v32 dst_sel:DWORD dst_unused:UNUSED_PAD src0_sel:WORD_1 src1_sel:DWORD
	v_fma_f16 v11, v12, v11, -v32
	s_waitcnt vmcnt(2)
	v_mul_f16_sdwa v12, v36, v13 dst_sel:DWORD dst_unused:UNUSED_PAD src0_sel:DWORD src1_sel:WORD_1
	v_fma_f16 v12, v28, v13, v12
	v_mul_f16_sdwa v28, v28, v13 dst_sel:DWORD dst_unused:UNUSED_PAD src0_sel:DWORD src1_sel:WORD_1
	v_fma_f16 v13, v36, v13, -v28
	v_mul_f16_sdwa v28, v37, v14 dst_sel:DWORD dst_unused:UNUSED_PAD src0_sel:DWORD src1_sel:WORD_1
	v_mul_f16_sdwa v32, v33, v14 dst_sel:DWORD dst_unused:UNUSED_PAD src0_sel:DWORD src1_sel:WORD_1
	v_fma_f16 v28, v33, v14, v28
	v_fma_f16 v14, v37, v14, -v32
	s_waitcnt vmcnt(1)
	v_mul_f16_sdwa v32, v39, v18 dst_sel:DWORD dst_unused:UNUSED_PAD src0_sel:DWORD src1_sel:WORD_1
	v_fma_f16 v32, v29, v18, v32
	v_mul_f16_sdwa v29, v29, v18 dst_sel:DWORD dst_unused:UNUSED_PAD src0_sel:DWORD src1_sel:WORD_1
	v_fma_f16 v18, v39, v18, -v29
	v_mul_f16_sdwa v29, v40, v19 dst_sel:DWORD dst_unused:UNUSED_PAD src0_sel:DWORD src1_sel:WORD_1
	v_fma_f16 v29, v30, v19, v29
	v_mul_f16_sdwa v30, v30, v19 dst_sel:DWORD dst_unused:UNUSED_PAD src0_sel:DWORD src1_sel:WORD_1
	v_fma_f16 v19, v40, v19, -v30
	s_waitcnt vmcnt(0)
	v_mul_f16_sdwa v30, v42, v15 dst_sel:DWORD dst_unused:UNUSED_PAD src0_sel:DWORD src1_sel:WORD_1
	v_fma_f16 v30, v7, v15, v30
	v_mul_f16_sdwa v7, v7, v15 dst_sel:DWORD dst_unused:UNUSED_PAD src0_sel:DWORD src1_sel:WORD_1
	v_fma_f16 v7, v42, v15, -v7
	v_mul_f16_sdwa v15, v43, v16 dst_sel:DWORD dst_unused:UNUSED_PAD src0_sel:DWORD src1_sel:WORD_1
	v_fma_f16 v15, v31, v16, v15
	v_mul_f16_sdwa v31, v31, v16 dst_sel:DWORD dst_unused:UNUSED_PAD src0_sel:DWORD src1_sel:WORD_1
	v_add_f16_e32 v33, v45, v44
	v_fma_f16 v16, v43, v16, -v31
	v_add_f16_e32 v31, v20, v45
	v_fma_f16 v20, v33, -0.5, v20
	v_sub_f16_e32 v33, v9, v8
	v_fma_f16 v36, v33, s0, v20
	v_fma_f16 v20, v33, s1, v20
	v_add_f16_e32 v33, v17, v9
	v_add_f16_e32 v33, v33, v8
	;; [unrolled: 1-line block ×3, first 2 shown]
	v_fma_f16 v8, v8, -0.5, v17
	v_sub_f16_e32 v9, v45, v44
	v_add_f16_e32 v37, v22, v23
	v_fma_f16 v17, v9, s1, v8
	v_fma_f16 v8, v9, s0, v8
	v_add_f16_e32 v9, v26, v22
	v_fma_f16 v26, v37, -0.5, v26
	v_sub_f16_e32 v37, v10, v11
	v_fma_f16 v39, v37, s0, v26
	v_fma_f16 v26, v37, s1, v26
	v_add_f16_e32 v37, v34, v10
	v_add_f16_e32 v10, v10, v11
	;; [unrolled: 1-line block ×4, first 2 shown]
	v_fma_f16 v10, v10, -0.5, v34
	v_sub_f16_e32 v11, v22, v23
	v_add_f16_e32 v23, v12, v28
	v_fma_f16 v22, v11, s1, v10
	v_fma_f16 v10, v11, s0, v10
	v_add_f16_e32 v11, v24, v12
	v_fma_f16 v23, v23, -0.5, v24
	v_sub_f16_e32 v24, v13, v14
	v_fma_f16 v34, v24, s0, v23
	v_fma_f16 v23, v24, s1, v23
	v_add_f16_e32 v24, v35, v13
	v_add_f16_e32 v13, v13, v14
	;; [unrolled: 1-line block ×3, first 2 shown]
	v_fma_f16 v13, v13, -0.5, v35
	v_sub_f16_e32 v12, v12, v28
	v_add_f16_e32 v28, v32, v29
	v_add_f16_e32 v24, v24, v14
	v_fma_f16 v14, v12, s1, v13
	v_fma_f16 v12, v12, s0, v13
	v_add_f16_e32 v13, v25, v32
	v_fma_f16 v25, v28, -0.5, v25
	v_sub_f16_e32 v28, v18, v19
	v_fma_f16 v35, v28, s0, v25
	v_fma_f16 v25, v28, s1, v25
	v_add_f16_e32 v28, v38, v18
	v_add_f16_e32 v18, v18, v19
	;; [unrolled: 1-line block ×3, first 2 shown]
	v_fma_f16 v18, v18, -0.5, v38
	v_sub_f16_e32 v19, v32, v29
	v_add_f16_e32 v32, v30, v15
	v_add_f16_e32 v13, v13, v29
	v_fma_f16 v29, v19, s1, v18
	v_fma_f16 v18, v19, s0, v18
	v_add_f16_e32 v19, v21, v30
	v_fma_f16 v21, v32, -0.5, v21
	v_sub_f16_e32 v32, v7, v16
	v_fma_f16 v38, v32, s0, v21
	v_fma_f16 v21, v32, s1, v21
	v_add_f16_e32 v32, v41, v7
	v_add_f16_e32 v7, v7, v16
	;; [unrolled: 1-line block ×4, first 2 shown]
	v_fma_f16 v7, v7, -0.5, v41
	v_sub_f16_e32 v15, v30, v15
	v_add_f16_e32 v32, v32, v16
	v_fma_f16 v16, v15, s1, v7
	v_fma_f16 v7, v15, s0, v7
	v_pack_b32_f16 v15, v31, v33
	v_pack_b32_f16 v8, v20, v8
	ds_write_b32 v0, v15
	v_pack_b32_f16 v15, v36, v17
	ds_write_b32 v0, v8 offset:2200
	v_pack_b32_f16 v8, v9, v37
	ds_write_b32 v0, v15 offset:1100
	ds_write_b32 v6, v8
	v_pack_b32_f16 v8, v39, v22
	ds_write_b32 v6, v8 offset:1100
	v_pack_b32_f16 v8, v26, v10
	ds_write_b32 v6, v8 offset:2200
	v_pack_b32_f16 v6, v11, v24
	v_pack_b32_f16 v10, v13, v28
	;; [unrolled: 1-line block ×3, first 2 shown]
	ds_write2_b32 v5, v6, v10 offset0:110 offset1:165
	v_pack_b32_f16 v6, v35, v29
	v_add_u32_e32 v10, 0x400, v5
	v_pack_b32_f16 v9, v23, v12
	ds_write2_b32 v10, v8, v6 offset0:129 offset1:184
	v_pack_b32_f16 v6, v25, v18
	v_add_u32_e32 v5, 0x800, v5
	ds_write2_b32 v5, v9, v6 offset0:148 offset1:203
	v_pack_b32_f16 v5, v19, v32
	ds_write_b32 v0, v5 offset:880
	v_pack_b32_f16 v5, v38, v16
	ds_write_b32 v0, v5 offset:1980
	;; [unrolled: 2-line block ×3, first 2 shown]
	s_waitcnt lgkmcnt(0)
	; wave barrier
	s_waitcnt lgkmcnt(0)
	s_and_saveexec_b64 s[0:1], vcc
	s_cbranch_execz .LBB0_17
; %bb.16:
	v_mul_lo_u32 v8, s5, v3
	v_mul_lo_u32 v9, s4, v4
	v_mad_u64_u32 v[3:4], s[0:1], s4, v3, 0
	v_mad_u64_u32 v[5:6], s[0:1], s2, v27, 0
	v_add3_u32 v4, v4, v9, v8
	v_lshlrev_b64 v[3:4], 2, v[3:4]
	v_mov_b32_e32 v0, v6
	v_mad_u64_u32 v[6:7], s[0:1], s3, v27, v[0:1]
	v_mov_b32_e32 v0, s11
	v_add_co_u32_e32 v3, vcc, s10, v3
	v_addc_co_u32_e32 v4, vcc, v0, v4, vcc
	v_lshlrev_b64 v[0:1], 2, v[1:2]
	v_lshl_add_u32 v9, v27, 2, 0
	v_add_co_u32_e32 v10, vcc, v3, v0
	v_addc_co_u32_e32 v11, vcc, v4, v1, vcc
	v_add_u32_e32 v4, 55, v27
	v_mad_u64_u32 v[2:3], s[0:1], s2, v4, 0
	ds_read2_b32 v[7:8], v9 offset1:55
	v_lshlrev_b64 v[0:1], 2, v[5:6]
	v_mad_u64_u32 v[3:4], s[0:1], s3, v4, v[3:4]
	v_add_u32_e32 v6, 0x6e, v27
	v_mad_u64_u32 v[4:5], s[0:1], s2, v6, 0
	v_add_co_u32_e32 v0, vcc, v10, v0
	v_addc_co_u32_e32 v1, vcc, v11, v1, vcc
	s_waitcnt lgkmcnt(0)
	global_store_dword v[0:1], v7, off
	v_lshlrev_b64 v[0:1], 2, v[2:3]
	v_mov_b32_e32 v2, v5
	v_mad_u64_u32 v[2:3], s[0:1], s3, v6, v[2:3]
	v_add_u32_e32 v6, 0xa5, v27
	v_add_co_u32_e32 v0, vcc, v10, v0
	v_mov_b32_e32 v5, v2
	v_lshlrev_b64 v[2:3], 2, v[4:5]
	v_mad_u64_u32 v[4:5], s[0:1], s2, v6, 0
	v_addc_co_u32_e32 v1, vcc, v11, v1, vcc
	global_store_dword v[0:1], v8, off
	ds_read2_b32 v[0:1], v9 offset0:110 offset1:165
	v_mad_u64_u32 v[5:6], s[0:1], s3, v6, v[5:6]
	v_add_u32_e32 v8, 0xdc, v27
	v_mad_u64_u32 v[6:7], s[0:1], s2, v8, 0
	v_add_co_u32_e32 v2, vcc, v10, v2
	v_addc_co_u32_e32 v3, vcc, v11, v3, vcc
	s_waitcnt lgkmcnt(0)
	global_store_dword v[2:3], v0, off
	v_mov_b32_e32 v0, v7
	v_lshlrev_b64 v[2:3], 2, v[4:5]
	v_mad_u64_u32 v[4:5], s[0:1], s3, v8, v[0:1]
	v_add_co_u32_e32 v2, vcc, v10, v2
	v_addc_co_u32_e32 v3, vcc, v11, v3, vcc
	v_mov_b32_e32 v7, v4
	global_store_dword v[2:3], v1, off
	v_lshlrev_b64 v[2:3], 2, v[6:7]
	v_add_u32_e32 v6, 0x113, v27
	v_mad_u64_u32 v[4:5], s[0:1], s2, v6, 0
	v_add_u32_e32 v0, 0x200, v9
	ds_read2_b32 v[0:1], v0 offset0:92 offset1:147
	v_mad_u64_u32 v[5:6], s[0:1], s3, v6, v[5:6]
	v_add_u32_e32 v8, 0x14a, v27
	v_mad_u64_u32 v[6:7], s[0:1], s2, v8, 0
	v_add_co_u32_e32 v2, vcc, v10, v2
	v_addc_co_u32_e32 v3, vcc, v11, v3, vcc
	s_waitcnt lgkmcnt(0)
	global_store_dword v[2:3], v0, off
	v_mov_b32_e32 v0, v7
	v_lshlrev_b64 v[2:3], 2, v[4:5]
	v_mad_u64_u32 v[4:5], s[0:1], s3, v8, v[0:1]
	v_add_co_u32_e32 v2, vcc, v10, v2
	v_addc_co_u32_e32 v3, vcc, v11, v3, vcc
	v_mov_b32_e32 v7, v4
	global_store_dword v[2:3], v1, off
	v_lshlrev_b64 v[2:3], 2, v[6:7]
	v_add_u32_e32 v6, 0x181, v27
	v_mad_u64_u32 v[4:5], s[0:1], s2, v6, 0
	v_add_u32_e32 v8, 0x400, v9
	ds_read2_b32 v[0:1], v8 offset0:74 offset1:129
	v_mad_u64_u32 v[5:6], s[0:1], s3, v6, v[5:6]
	v_add_u32_e32 v12, 0x1b8, v27
	v_mad_u64_u32 v[6:7], s[0:1], s2, v12, 0
	v_add_co_u32_e32 v2, vcc, v10, v2
	v_addc_co_u32_e32 v3, vcc, v11, v3, vcc
	s_waitcnt lgkmcnt(0)
	global_store_dword v[2:3], v0, off
	v_mov_b32_e32 v0, v7
	v_lshlrev_b64 v[2:3], 2, v[4:5]
	v_mad_u64_u32 v[4:5], s[0:1], s3, v12, v[0:1]
	v_add_co_u32_e32 v2, vcc, v10, v2
	v_addc_co_u32_e32 v3, vcc, v11, v3, vcc
	v_mov_b32_e32 v7, v4
	global_store_dword v[2:3], v1, off
	v_lshlrev_b64 v[2:3], 2, v[6:7]
	v_add_u32_e32 v6, 0x1ef, v27
	v_mad_u64_u32 v[4:5], s[0:1], s2, v6, 0
	ds_read2_b32 v[0:1], v8 offset0:184 offset1:239
	v_add_u32_e32 v8, 0x226, v27
	v_mad_u64_u32 v[5:6], s[0:1], s3, v6, v[5:6]
	v_mad_u64_u32 v[6:7], s[0:1], s2, v8, 0
	v_add_co_u32_e32 v2, vcc, v10, v2
	v_addc_co_u32_e32 v3, vcc, v11, v3, vcc
	s_waitcnt lgkmcnt(0)
	global_store_dword v[2:3], v0, off
	v_mov_b32_e32 v0, v7
	v_lshlrev_b64 v[2:3], 2, v[4:5]
	v_mad_u64_u32 v[4:5], s[0:1], s3, v8, v[0:1]
	v_add_co_u32_e32 v2, vcc, v10, v2
	v_addc_co_u32_e32 v3, vcc, v11, v3, vcc
	v_mov_b32_e32 v7, v4
	global_store_dword v[2:3], v1, off
	v_lshlrev_b64 v[2:3], 2, v[6:7]
	v_add_u32_e32 v6, 0x25d, v27
	v_mad_u64_u32 v[4:5], s[0:1], s2, v6, 0
	v_add_u32_e32 v8, 0x800, v9
	ds_read2_b32 v[0:1], v8 offset0:38 offset1:93
	v_mad_u64_u32 v[5:6], s[0:1], s3, v6, v[5:6]
	v_add_u32_e32 v12, 0x294, v27
	v_mad_u64_u32 v[6:7], s[0:1], s2, v12, 0
	v_add_co_u32_e32 v2, vcc, v10, v2
	v_addc_co_u32_e32 v3, vcc, v11, v3, vcc
	s_waitcnt lgkmcnt(0)
	global_store_dword v[2:3], v0, off
	v_mov_b32_e32 v0, v7
	v_lshlrev_b64 v[2:3], 2, v[4:5]
	v_mad_u64_u32 v[4:5], s[0:1], s3, v12, v[0:1]
	v_add_co_u32_e32 v2, vcc, v10, v2
	v_addc_co_u32_e32 v3, vcc, v11, v3, vcc
	v_mov_b32_e32 v7, v4
	global_store_dword v[2:3], v1, off
	v_lshlrev_b64 v[2:3], 2, v[6:7]
	v_add_u32_e32 v6, 0x2cb, v27
	v_mad_u64_u32 v[4:5], s[0:1], s2, v6, 0
	ds_read2_b32 v[0:1], v8 offset0:148 offset1:203
	v_add_u32_e32 v8, 0x302, v27
	v_mad_u64_u32 v[5:6], s[0:1], s3, v6, v[5:6]
	v_mad_u64_u32 v[6:7], s[0:1], s2, v8, 0
	v_add_co_u32_e32 v2, vcc, v10, v2
	v_addc_co_u32_e32 v3, vcc, v11, v3, vcc
	s_waitcnt lgkmcnt(0)
	global_store_dword v[2:3], v0, off
	v_mov_b32_e32 v0, v7
	v_lshlrev_b64 v[2:3], 2, v[4:5]
	v_mad_u64_u32 v[4:5], s[0:1], s3, v8, v[0:1]
	v_add_co_u32_e32 v2, vcc, v10, v2
	v_addc_co_u32_e32 v3, vcc, v11, v3, vcc
	global_store_dword v[2:3], v1, off
	v_mov_b32_e32 v7, v4
	ds_read_b32 v2, v9 offset:3080
	v_lshlrev_b64 v[0:1], 2, v[6:7]
	v_add_co_u32_e32 v0, vcc, v10, v0
	v_addc_co_u32_e32 v1, vcc, v11, v1, vcc
	s_waitcnt lgkmcnt(0)
	global_store_dword v[0:1], v2, off
.LBB0_17:
	s_endpgm
	.section	.rodata,"a",@progbits
	.p2align	6, 0x0
	.amdhsa_kernel fft_rtc_back_len825_factors_11_5_5_3_wgs_55_tpt_55_half_op_CI_CI_sbrr_dirReg
		.amdhsa_group_segment_fixed_size 0
		.amdhsa_private_segment_fixed_size 0
		.amdhsa_kernarg_size 104
		.amdhsa_user_sgpr_count 6
		.amdhsa_user_sgpr_private_segment_buffer 1
		.amdhsa_user_sgpr_dispatch_ptr 0
		.amdhsa_user_sgpr_queue_ptr 0
		.amdhsa_user_sgpr_kernarg_segment_ptr 1
		.amdhsa_user_sgpr_dispatch_id 0
		.amdhsa_user_sgpr_flat_scratch_init 0
		.amdhsa_user_sgpr_private_segment_size 0
		.amdhsa_uses_dynamic_stack 0
		.amdhsa_system_sgpr_private_segment_wavefront_offset 0
		.amdhsa_system_sgpr_workgroup_id_x 1
		.amdhsa_system_sgpr_workgroup_id_y 0
		.amdhsa_system_sgpr_workgroup_id_z 0
		.amdhsa_system_sgpr_workgroup_info 0
		.amdhsa_system_vgpr_workitem_id 0
		.amdhsa_next_free_vgpr 78
		.amdhsa_next_free_sgpr 32
		.amdhsa_reserve_vcc 1
		.amdhsa_reserve_flat_scratch 0
		.amdhsa_float_round_mode_32 0
		.amdhsa_float_round_mode_16_64 0
		.amdhsa_float_denorm_mode_32 3
		.amdhsa_float_denorm_mode_16_64 3
		.amdhsa_dx10_clamp 1
		.amdhsa_ieee_mode 1
		.amdhsa_fp16_overflow 0
		.amdhsa_exception_fp_ieee_invalid_op 0
		.amdhsa_exception_fp_denorm_src 0
		.amdhsa_exception_fp_ieee_div_zero 0
		.amdhsa_exception_fp_ieee_overflow 0
		.amdhsa_exception_fp_ieee_underflow 0
		.amdhsa_exception_fp_ieee_inexact 0
		.amdhsa_exception_int_div_zero 0
	.end_amdhsa_kernel
	.text
.Lfunc_end0:
	.size	fft_rtc_back_len825_factors_11_5_5_3_wgs_55_tpt_55_half_op_CI_CI_sbrr_dirReg, .Lfunc_end0-fft_rtc_back_len825_factors_11_5_5_3_wgs_55_tpt_55_half_op_CI_CI_sbrr_dirReg
                                        ; -- End function
	.section	.AMDGPU.csdata,"",@progbits
; Kernel info:
; codeLenInByte = 12608
; NumSgprs: 36
; NumVgprs: 78
; ScratchSize: 0
; MemoryBound: 0
; FloatMode: 240
; IeeeMode: 1
; LDSByteSize: 0 bytes/workgroup (compile time only)
; SGPRBlocks: 4
; VGPRBlocks: 19
; NumSGPRsForWavesPerEU: 36
; NumVGPRsForWavesPerEU: 78
; Occupancy: 3
; WaveLimiterHint : 1
; COMPUTE_PGM_RSRC2:SCRATCH_EN: 0
; COMPUTE_PGM_RSRC2:USER_SGPR: 6
; COMPUTE_PGM_RSRC2:TRAP_HANDLER: 0
; COMPUTE_PGM_RSRC2:TGID_X_EN: 1
; COMPUTE_PGM_RSRC2:TGID_Y_EN: 0
; COMPUTE_PGM_RSRC2:TGID_Z_EN: 0
; COMPUTE_PGM_RSRC2:TIDIG_COMP_CNT: 0
	.type	__hip_cuid_a6528b82f666f227,@object ; @__hip_cuid_a6528b82f666f227
	.section	.bss,"aw",@nobits
	.globl	__hip_cuid_a6528b82f666f227
__hip_cuid_a6528b82f666f227:
	.byte	0                               ; 0x0
	.size	__hip_cuid_a6528b82f666f227, 1

	.ident	"AMD clang version 19.0.0git (https://github.com/RadeonOpenCompute/llvm-project roc-6.4.0 25133 c7fe45cf4b819c5991fe208aaa96edf142730f1d)"
	.section	".note.GNU-stack","",@progbits
	.addrsig
	.addrsig_sym __hip_cuid_a6528b82f666f227
	.amdgpu_metadata
---
amdhsa.kernels:
  - .args:
      - .actual_access:  read_only
        .address_space:  global
        .offset:         0
        .size:           8
        .value_kind:     global_buffer
      - .offset:         8
        .size:           8
        .value_kind:     by_value
      - .actual_access:  read_only
        .address_space:  global
        .offset:         16
        .size:           8
        .value_kind:     global_buffer
      - .actual_access:  read_only
        .address_space:  global
        .offset:         24
        .size:           8
        .value_kind:     global_buffer
      - .actual_access:  read_only
        .address_space:  global
        .offset:         32
        .size:           8
        .value_kind:     global_buffer
      - .offset:         40
        .size:           8
        .value_kind:     by_value
      - .actual_access:  read_only
        .address_space:  global
        .offset:         48
        .size:           8
        .value_kind:     global_buffer
      - .actual_access:  read_only
        .address_space:  global
        .offset:         56
        .size:           8
        .value_kind:     global_buffer
      - .offset:         64
        .size:           4
        .value_kind:     by_value
      - .actual_access:  read_only
        .address_space:  global
        .offset:         72
        .size:           8
        .value_kind:     global_buffer
      - .actual_access:  read_only
        .address_space:  global
        .offset:         80
        .size:           8
        .value_kind:     global_buffer
      - .actual_access:  read_only
        .address_space:  global
        .offset:         88
        .size:           8
        .value_kind:     global_buffer
      - .actual_access:  write_only
        .address_space:  global
        .offset:         96
        .size:           8
        .value_kind:     global_buffer
    .group_segment_fixed_size: 0
    .kernarg_segment_align: 8
    .kernarg_segment_size: 104
    .language:       OpenCL C
    .language_version:
      - 2
      - 0
    .max_flat_workgroup_size: 55
    .name:           fft_rtc_back_len825_factors_11_5_5_3_wgs_55_tpt_55_half_op_CI_CI_sbrr_dirReg
    .private_segment_fixed_size: 0
    .sgpr_count:     36
    .sgpr_spill_count: 0
    .symbol:         fft_rtc_back_len825_factors_11_5_5_3_wgs_55_tpt_55_half_op_CI_CI_sbrr_dirReg.kd
    .uniform_work_group_size: 1
    .uses_dynamic_stack: false
    .vgpr_count:     78
    .vgpr_spill_count: 0
    .wavefront_size: 64
amdhsa.target:   amdgcn-amd-amdhsa--gfx906
amdhsa.version:
  - 1
  - 2
...

	.end_amdgpu_metadata
